;; amdgpu-corpus repo=ggml-org/llama.cpp kind=compiled arch=gfx1100 opt=O3
	.text
	.amdgcn_target "amdgcn-amd-amdhsa--gfx1100"
	.amdhsa_code_object_version 6
	.section	.text._ZL8norm_f32ILi32EEvPKfPfilllf,"axG",@progbits,_ZL8norm_f32ILi32EEvPKfPfilllf,comdat
	.globl	_ZL8norm_f32ILi32EEvPKfPfilllf  ; -- Begin function _ZL8norm_f32ILi32EEvPKfPfilllf
	.p2align	8
	.type	_ZL8norm_f32ILi32EEvPKfPfilllf,@function
_ZL8norm_f32ILi32EEvPKfPfilllf:         ; @_ZL8norm_f32ILi32EEvPKfPfilllf
; %bb.0:
	s_clause 0x4
	s_load_b32 s12, s[0:1], 0x10
	s_load_b64 s[2:3], s[0:1], 0x28
	s_load_b128 s[36:39], s[0:1], 0x18
	s_load_b128 s[4:7], s[0:1], 0x0
	s_load_b64 s[8:9], s[0:1], 0x38
	v_dual_mov_b32 v4, 0 :: v_dual_lshlrev_b32 v3, 2, v0
	v_mov_b32_e32 v5, 0
	s_ashr_i32 s10, s15, 31
	s_ashr_i32 s11, s14, 31
	s_ashr_i32 s17, s13, 31
	s_waitcnt lgkmcnt(0)
	v_cmp_gt_i32_e32 vcc_lo, s12, v0
	s_mul_i32 s26, s2, s10
	s_mul_hi_u32 s28, s2, s15
	s_mul_i32 s23, s3, s15
	s_mul_i32 s18, s2, s15
	s_mul_i32 s25, s38, s11
	s_mul_hi_u32 s27, s38, s14
	s_mul_i32 s24, s39, s14
	s_mul_i32 s16, s38, s14
	;; [unrolled: 4-line block ×3, first 2 shown]
	s_and_saveexec_b32 s29, vcc_lo
	s_cbranch_execz .LBB0_4
; %bb.1:
	s_add_i32 s2, s28, s26
	s_add_i32 s3, s27, s25
	;; [unrolled: 1-line block ×4, first 2 shown]
	s_lshl_b64 s[2:3], s[18:19], 2
	s_lshl_b64 s[30:31], s[16:17], 2
	v_dual_mov_b32 v4, 0 :: v_dual_mov_b32 v5, 0
	s_add_u32 s17, s2, s30
	s_addc_u32 s19, s3, s31
	s_add_i32 s2, s22, s20
	v_mov_b32_e32 v6, v0
	s_add_i32 s11, s2, s21
	s_delay_alu instid0(SALU_CYCLE_1)
	s_lshl_b64 s[2:3], s[10:11], 2
	s_mov_b32 s11, 0
	s_add_u32 s2, s17, s2
	s_addc_u32 s3, s19, s3
	s_add_u32 s2, s4, s2
	s_addc_u32 s3, s5, s3
	v_add_co_u32 v1, s2, s2, v3
	s_delay_alu instid0(VALU_DEP_1)
	v_add_co_ci_u32_e64 v2, null, s3, 0, s2
.LBB0_2:                                ; =>This Inner Loop Header: Depth=1
	global_load_b32 v7, v[1:2], off
	v_add_nc_u32_e32 v6, 32, v6
	v_add_co_u32 v1, s2, 0x80, v1
	s_delay_alu instid0(VALU_DEP_1) | instskip(SKIP_4) | instid1(VALU_DEP_2)
	v_add_co_ci_u32_e64 v2, s2, 0, v2, s2
	s_waitcnt vmcnt(0)
	v_add_f32_e32 v5, v5, v7
	v_cmp_le_i32_e64 s3, s12, v6
	v_fmac_f32_e32 v4, v7, v7
	s_or_b32 s11, s3, s11
	s_delay_alu instid0(SALU_CYCLE_1)
	s_and_not1_b32 exec_lo, exec_lo, s11
	s_cbranch_execnz .LBB0_2
; %bb.3:
	s_or_b32 exec_lo, exec_lo, s11
.LBB0_4:
	s_delay_alu instid0(SALU_CYCLE_1) | instskip(SKIP_2) | instid1(VALU_DEP_1)
	s_or_b32 exec_lo, exec_lo, s29
	v_mbcnt_lo_u32_b32 v1, -1, 0
	s_mov_b32 s3, 0
	v_xor_b32_e32 v2, 16, v1
	v_xor_b32_e32 v7, 8, v1
	s_delay_alu instid0(VALU_DEP_2) | instskip(NEXT) | instid1(VALU_DEP_1)
	v_cmp_gt_i32_e64 s2, 32, v2
	v_cndmask_b32_e64 v2, v1, v2, s2
	s_delay_alu instid0(VALU_DEP_3) | instskip(NEXT) | instid1(VALU_DEP_2)
	v_cmp_gt_i32_e64 s2, 32, v7
	v_lshlrev_b32_e32 v2, 2, v2
	s_delay_alu instid0(VALU_DEP_2)
	v_cndmask_b32_e64 v7, v1, v7, s2
	ds_bpermute_b32 v6, v2, v5
	ds_bpermute_b32 v2, v2, v4
	v_lshlrev_b32_e32 v7, 2, v7
	s_waitcnt lgkmcnt(1)
	v_add_f32_e32 v5, v5, v6
	s_waitcnt lgkmcnt(0)
	v_add_f32_e32 v2, v4, v2
	ds_bpermute_b32 v4, v7, v5
	ds_bpermute_b32 v6, v7, v2
	v_xor_b32_e32 v7, 4, v1
	s_delay_alu instid0(VALU_DEP_1) | instskip(NEXT) | instid1(VALU_DEP_1)
	v_cmp_gt_i32_e64 s2, 32, v7
	v_cndmask_b32_e64 v7, v1, v7, s2
	s_waitcnt lgkmcnt(1)
	s_delay_alu instid0(VALU_DEP_1)
	v_dual_add_f32 v4, v5, v4 :: v_dual_lshlrev_b32 v7, 2, v7
	s_waitcnt lgkmcnt(0)
	v_add_f32_e32 v2, v2, v6
	ds_bpermute_b32 v5, v7, v4
	ds_bpermute_b32 v6, v7, v2
	v_xor_b32_e32 v7, 2, v1
	s_delay_alu instid0(VALU_DEP_1) | instskip(NEXT) | instid1(VALU_DEP_1)
	v_cmp_gt_i32_e64 s2, 32, v7
	v_cndmask_b32_e64 v7, v1, v7, s2
	s_waitcnt lgkmcnt(1)
	s_delay_alu instid0(VALU_DEP_1)
	v_dual_add_f32 v4, v4, v5 :: v_dual_lshlrev_b32 v7, 2, v7
	;; [unrolled: 11-line block ×3, first 2 shown]
	s_waitcnt lgkmcnt(0)
	v_add_f32_e32 v1, v5, v6
	ds_bpermute_b32 v5, v7, v2
	ds_bpermute_b32 v4, v7, v1
	s_and_saveexec_b32 s2, vcc_lo
	s_cbranch_execz .LBB0_7
; %bb.5:
	s_waitcnt lgkmcnt(0)
	v_dual_add_f32 v2, v2, v5 :: v_dual_add_f32 v1, v1, v4
	v_cvt_f32_i32_e32 v6, s12
	s_load_b32 s0, s[0:1], 0x30
	s_mul_i32 s1, s9, s15
	s_add_i32 s9, s27, s25
	s_add_i32 s1, s1, s14
	v_div_scale_f32 v4, null, v6, v6, v2
	v_div_scale_f32 v5, null, v6, v6, v1
	v_div_scale_f32 v11, vcc_lo, v2, v6, v2
	s_delay_alu instid0(VALU_DEP_3) | instskip(NEXT) | instid1(VALU_DEP_2)
	v_rcp_f32_e32 v7, v4
	v_rcp_f32_e32 v8, v5
	s_add_i32 s17, s9, s24
	s_waitcnt_depctr 0xfff
	v_fma_f32 v9, -v4, v7, 1.0
	v_fma_f32 v10, -v5, v8, 1.0
	s_delay_alu instid0(VALU_DEP_1) | instskip(SKIP_1) | instid1(VALU_DEP_2)
	v_dual_fmac_f32 v7, v9, v7 :: v_dual_fmac_f32 v8, v10, v8
	v_div_scale_f32 v9, s2, v1, v6, v1
	v_mul_f32_e32 v10, v11, v7
	s_delay_alu instid0(VALU_DEP_2) | instskip(NEXT) | instid1(VALU_DEP_2)
	v_mul_f32_e32 v12, v9, v8
	v_fma_f32 v13, -v4, v10, v11
	s_delay_alu instid0(VALU_DEP_2) | instskip(NEXT) | instid1(VALU_DEP_2)
	v_fma_f32 v14, -v5, v12, v9
	v_fmac_f32_e32 v10, v13, v7
	s_delay_alu instid0(VALU_DEP_2) | instskip(NEXT) | instid1(VALU_DEP_2)
	v_fmac_f32_e32 v12, v14, v8
	v_fma_f32 v4, -v4, v10, v11
	s_delay_alu instid0(VALU_DEP_2) | instskip(NEXT) | instid1(VALU_DEP_2)
	v_fma_f32 v5, -v5, v12, v9
	v_div_fmas_f32 v4, v4, v7, v10
	s_mov_b32 vcc_lo, s2
	s_add_i32 s2, s28, s26
	s_delay_alu instid0(VALU_DEP_2)
	v_div_fmas_f32 v7, v5, v8, v12
	s_add_i32 s19, s2, s23
	v_div_fixup_f32 v5, v4, v6, v2
	s_mul_i32 s2, s1, s8
	s_lshl_b64 s[8:9], s[16:17], 2
	v_div_fixup_f32 v1, v7, v6, v1
	s_add_i32 s2, s2, s13
	s_delay_alu instid0(SALU_CYCLE_1) | instskip(NEXT) | instid1(VALU_DEP_1)
	s_mul_i32 s14, s2, s12
	v_fma_f32 v1, -v5, v5, v1
	s_ashr_i32 s15, s14, 31
	s_waitcnt lgkmcnt(0)
	s_delay_alu instid0(VALU_DEP_1) | instskip(SKIP_1) | instid1(SALU_CYCLE_1)
	v_add_f32_e32 v1, s0, v1
	s_lshl_b64 s[0:1], s[18:19], 2
	s_add_u32 s2, s0, s8
	s_addc_u32 s8, s1, s9
	s_delay_alu instid0(VALU_DEP_1) | instskip(SKIP_2) | instid1(SALU_CYCLE_1)
	v_mul_f32_e32 v2, 0x4b800000, v1
	v_cmp_gt_f32_e32 vcc_lo, 0x800000, v1
	s_add_i32 s0, s22, s20
	s_add_i32 s11, s0, s21
	s_delay_alu instid0(VALU_DEP_2) | instskip(SKIP_1) | instid1(SALU_CYCLE_1)
	v_cndmask_b32_e32 v1, v1, v2, vcc_lo
	s_lshl_b64 s[0:1], s[10:11], 2
	s_add_u32 s0, s2, s0
	s_addc_u32 s1, s8, s1
	s_delay_alu instid0(VALU_DEP_1)
	v_rsq_f32_e32 v4, v1
	s_add_u32 s2, s4, s0
	s_addc_u32 s4, s5, s1
	s_lshl_b64 s[0:1], s[14:15], 2
	v_add_co_u32 v1, s2, s2, v3
	s_add_u32 s0, s6, s0
	s_addc_u32 s1, s7, s1
	v_add_co_u32 v3, s0, s0, v3
	s_waitcnt_depctr 0xfff
	v_mul_f32_e32 v6, 0x45800000, v4
	v_add_co_ci_u32_e64 v2, null, s4, 0, s2
	s_delay_alu instid0(VALU_DEP_2)
	v_cndmask_b32_e32 v6, v4, v6, vcc_lo
	v_add_co_ci_u32_e64 v4, null, s1, 0, s0
	.p2align	6
.LBB0_6:                                ; =>This Inner Loop Header: Depth=1
	global_load_b32 v7, v[1:2], off
	v_add_nc_u32_e32 v0, 32, v0
	v_add_co_u32 v1, vcc_lo, 0x80, v1
	v_add_co_ci_u32_e32 v2, vcc_lo, 0, v2, vcc_lo
	s_waitcnt vmcnt(0)
	v_sub_f32_e32 v7, v7, v5
	v_cmp_le_i32_e32 vcc_lo, s12, v0
	s_delay_alu instid0(VALU_DEP_2) | instskip(SKIP_3) | instid1(VALU_DEP_1)
	v_mul_f32_e32 v7, v6, v7
	s_or_b32 s3, vcc_lo, s3
	global_store_b32 v[3:4], v7, off
	v_add_co_u32 v3, s0, 0x80, v3
	v_add_co_ci_u32_e64 v4, s0, 0, v4, s0
	s_and_not1_b32 exec_lo, exec_lo, s3
	s_cbranch_execnz .LBB0_6
.LBB0_7:
	s_nop 0
	s_sendmsg sendmsg(MSG_DEALLOC_VGPRS)
	s_endpgm
	.section	.rodata,"a",@progbits
	.p2align	6, 0x0
	.amdhsa_kernel _ZL8norm_f32ILi32EEvPKfPfilllf
		.amdhsa_group_segment_fixed_size 0
		.amdhsa_private_segment_fixed_size 0
		.amdhsa_kernarg_size 312
		.amdhsa_user_sgpr_count 13
		.amdhsa_user_sgpr_dispatch_ptr 0
		.amdhsa_user_sgpr_queue_ptr 0
		.amdhsa_user_sgpr_kernarg_segment_ptr 1
		.amdhsa_user_sgpr_dispatch_id 0
		.amdhsa_user_sgpr_private_segment_size 0
		.amdhsa_wavefront_size32 1
		.amdhsa_uses_dynamic_stack 0
		.amdhsa_enable_private_segment 0
		.amdhsa_system_sgpr_workgroup_id_x 1
		.amdhsa_system_sgpr_workgroup_id_y 1
		.amdhsa_system_sgpr_workgroup_id_z 1
		.amdhsa_system_sgpr_workgroup_info 0
		.amdhsa_system_vgpr_workitem_id 0
		.amdhsa_next_free_vgpr 15
		.amdhsa_next_free_sgpr 40
		.amdhsa_reserve_vcc 1
		.amdhsa_float_round_mode_32 0
		.amdhsa_float_round_mode_16_64 0
		.amdhsa_float_denorm_mode_32 3
		.amdhsa_float_denorm_mode_16_64 3
		.amdhsa_dx10_clamp 1
		.amdhsa_ieee_mode 1
		.amdhsa_fp16_overflow 0
		.amdhsa_workgroup_processor_mode 1
		.amdhsa_memory_ordered 1
		.amdhsa_forward_progress 0
		.amdhsa_shared_vgpr_count 0
		.amdhsa_exception_fp_ieee_invalid_op 0
		.amdhsa_exception_fp_denorm_src 0
		.amdhsa_exception_fp_ieee_div_zero 0
		.amdhsa_exception_fp_ieee_overflow 0
		.amdhsa_exception_fp_ieee_underflow 0
		.amdhsa_exception_fp_ieee_inexact 0
		.amdhsa_exception_int_div_zero 0
	.end_amdhsa_kernel
	.section	.text._ZL8norm_f32ILi32EEvPKfPfilllf,"axG",@progbits,_ZL8norm_f32ILi32EEvPKfPfilllf,comdat
.Lfunc_end0:
	.size	_ZL8norm_f32ILi32EEvPKfPfilllf, .Lfunc_end0-_ZL8norm_f32ILi32EEvPKfPfilllf
                                        ; -- End function
	.section	.AMDGPU.csdata,"",@progbits
; Kernel info:
; codeLenInByte = 1148
; NumSgprs: 42
; NumVgprs: 15
; ScratchSize: 0
; MemoryBound: 0
; FloatMode: 240
; IeeeMode: 1
; LDSByteSize: 0 bytes/workgroup (compile time only)
; SGPRBlocks: 5
; VGPRBlocks: 1
; NumSGPRsForWavesPerEU: 42
; NumVGPRsForWavesPerEU: 15
; Occupancy: 16
; WaveLimiterHint : 0
; COMPUTE_PGM_RSRC2:SCRATCH_EN: 0
; COMPUTE_PGM_RSRC2:USER_SGPR: 13
; COMPUTE_PGM_RSRC2:TRAP_HANDLER: 0
; COMPUTE_PGM_RSRC2:TGID_X_EN: 1
; COMPUTE_PGM_RSRC2:TGID_Y_EN: 1
; COMPUTE_PGM_RSRC2:TGID_Z_EN: 1
; COMPUTE_PGM_RSRC2:TIDIG_COMP_CNT: 0
	.section	.text._ZL8norm_f32ILi1024EEvPKfPfilllf,"axG",@progbits,_ZL8norm_f32ILi1024EEvPKfPfilllf,comdat
	.globl	_ZL8norm_f32ILi1024EEvPKfPfilllf ; -- Begin function _ZL8norm_f32ILi1024EEvPKfPfilllf
	.p2align	8
	.type	_ZL8norm_f32ILi1024EEvPKfPfilllf,@function
_ZL8norm_f32ILi1024EEvPKfPfilllf:       ; @_ZL8norm_f32ILi1024EEvPKfPfilllf
; %bb.0:
	s_clause 0x4
	s_load_b32 s12, s[0:1], 0x10
	s_load_b64 s[2:3], s[0:1], 0x28
	s_load_b128 s[36:39], s[0:1], 0x18
	s_load_b128 s[4:7], s[0:1], 0x0
	s_load_b64 s[8:9], s[0:1], 0x38
	v_dual_mov_b32 v4, 0 :: v_dual_lshlrev_b32 v3, 2, v0
	v_mov_b32_e32 v5, 0
	s_ashr_i32 s10, s15, 31
	s_ashr_i32 s11, s14, 31
	;; [unrolled: 1-line block ×3, first 2 shown]
	s_waitcnt lgkmcnt(0)
	v_cmp_gt_i32_e32 vcc_lo, s12, v0
	s_mul_i32 s26, s2, s10
	s_mul_hi_u32 s28, s2, s15
	s_mul_i32 s23, s3, s15
	s_mul_i32 s18, s2, s15
	s_mul_i32 s25, s38, s11
	s_mul_hi_u32 s27, s38, s14
	s_mul_i32 s24, s39, s14
	s_mul_i32 s16, s38, s14
	;; [unrolled: 4-line block ×3, first 2 shown]
	s_and_saveexec_b32 s29, vcc_lo
	s_cbranch_execz .LBB1_4
; %bb.1:
	s_add_i32 s2, s28, s26
	s_add_i32 s3, s27, s25
	;; [unrolled: 1-line block ×4, first 2 shown]
	s_lshl_b64 s[2:3], s[18:19], 2
	s_lshl_b64 s[30:31], s[16:17], 2
	v_dual_mov_b32 v4, 0 :: v_dual_mov_b32 v5, 0
	s_add_u32 s17, s2, s30
	s_addc_u32 s19, s3, s31
	s_add_i32 s2, s22, s20
	v_mov_b32_e32 v6, v0
	s_add_i32 s11, s2, s21
	s_delay_alu instid0(SALU_CYCLE_1)
	s_lshl_b64 s[2:3], s[10:11], 2
	s_mov_b32 s11, 0
	s_add_u32 s2, s17, s2
	s_addc_u32 s3, s19, s3
	s_add_u32 s2, s4, s2
	s_addc_u32 s3, s5, s3
	v_add_co_u32 v1, s2, s2, v3
	s_delay_alu instid0(VALU_DEP_1)
	v_add_co_ci_u32_e64 v2, null, s3, 0, s2
.LBB1_2:                                ; =>This Inner Loop Header: Depth=1
	global_load_b32 v7, v[1:2], off
	v_add_nc_u32_e32 v6, 0x400, v6
	v_add_co_u32 v1, s2, 0x1000, v1
	s_delay_alu instid0(VALU_DEP_1) | instskip(SKIP_4) | instid1(VALU_DEP_2)
	v_add_co_ci_u32_e64 v2, s2, 0, v2, s2
	s_waitcnt vmcnt(0)
	v_add_f32_e32 v5, v5, v7
	v_cmp_le_i32_e64 s3, s12, v6
	v_fmac_f32_e32 v4, v7, v7
	s_or_b32 s11, s3, s11
	s_delay_alu instid0(SALU_CYCLE_1)
	s_and_not1_b32 exec_lo, exec_lo, s11
	s_cbranch_execnz .LBB1_2
; %bb.3:
	s_or_b32 exec_lo, exec_lo, s11
.LBB1_4:
	s_delay_alu instid0(SALU_CYCLE_1) | instskip(SKIP_2) | instid1(VALU_DEP_1)
	s_or_b32 exec_lo, exec_lo, s29
	v_mbcnt_lo_u32_b32 v6, -1, 0
	s_mov_b32 s3, exec_lo
	v_xor_b32_e32 v1, 16, v6
	v_xor_b32_e32 v2, 8, v6
	;; [unrolled: 1-line block ×3, first 2 shown]
	s_delay_alu instid0(VALU_DEP_3) | instskip(NEXT) | instid1(VALU_DEP_1)
	v_cmp_gt_i32_e64 s2, 32, v1
	v_cndmask_b32_e64 v1, v6, v1, s2
	s_delay_alu instid0(VALU_DEP_4) | instskip(NEXT) | instid1(VALU_DEP_2)
	v_cmp_gt_i32_e64 s2, 32, v2
	v_lshlrev_b32_e32 v1, 2, v1
	s_delay_alu instid0(VALU_DEP_2)
	v_cndmask_b32_e64 v2, v6, v2, s2
	ds_bpermute_b32 v7, v1, v5
	ds_bpermute_b32 v8, v1, v4
	s_waitcnt lgkmcnt(1)
	v_dual_add_f32 v5, v5, v7 :: v_dual_lshlrev_b32 v2, 2, v2
	s_waitcnt lgkmcnt(0)
	v_add_f32_e32 v7, v4, v8
	v_xor_b32_e32 v4, 4, v6
	ds_bpermute_b32 v8, v2, v5
	v_cmp_gt_i32_e64 s2, 32, v4
	s_delay_alu instid0(VALU_DEP_1) | instskip(SKIP_3) | instid1(VALU_DEP_1)
	v_cndmask_b32_e64 v4, v6, v4, s2
	s_waitcnt lgkmcnt(0)
	v_add_f32_e32 v8, v5, v8
	v_xor_b32_e32 v5, 2, v6
	v_cmp_gt_i32_e64 s2, 32, v5
	s_delay_alu instid0(VALU_DEP_1) | instskip(SKIP_1) | instid1(VALU_DEP_2)
	v_cndmask_b32_e64 v5, v6, v5, s2
	v_cmp_gt_i32_e64 s2, 32, v11
	v_lshlrev_b32_e32 v5, 2, v5
	s_delay_alu instid0(VALU_DEP_2) | instskip(NEXT) | instid1(VALU_DEP_1)
	v_cndmask_b32_e64 v6, v6, v11, s2
	v_lshlrev_b32_e32 v6, 2, v6
	ds_bpermute_b32 v9, v2, v7
	s_waitcnt lgkmcnt(0)
	v_dual_add_f32 v7, v7, v9 :: v_dual_lshlrev_b32 v4, 2, v4
	ds_bpermute_b32 v9, v4, v8
	ds_bpermute_b32 v10, v4, v7
	s_waitcnt lgkmcnt(0)
	v_dual_add_f32 v8, v8, v9 :: v_dual_add_f32 v7, v7, v10
	ds_bpermute_b32 v9, v5, v8
	ds_bpermute_b32 v10, v5, v7
	s_waitcnt lgkmcnt(0)
	v_dual_add_f32 v8, v8, v9 :: v_dual_add_f32 v9, v7, v10
	ds_bpermute_b32 v10, v6, v8
	v_and_b32_e32 v7, 31, v0
	ds_bpermute_b32 v11, v6, v9
	v_cmpx_eq_u32_e32 0, v7
	s_cbranch_execz .LBB1_6
; %bb.5:
	v_lshrrev_b32_e32 v12, 2, v0
	s_waitcnt lgkmcnt(0)
	v_dual_add_f32 v8, v8, v10 :: v_dual_add_f32 v9, v9, v11
	s_delay_alu instid0(VALU_DEP_2)
	v_add_nc_u32_e32 v10, 0, v12
	ds_store_b64 v10, v[8:9]
.LBB1_6:
	s_or_b32 exec_lo, exec_lo, s3
	v_lshl_add_u32 v7, v7, 3, 0
	s_waitcnt lgkmcnt(0)
	s_barrier
	buffer_gl0_inv
	ds_load_b64 v[7:8], v7
	s_waitcnt lgkmcnt(0)
	ds_bpermute_b32 v9, v1, v7
	ds_bpermute_b32 v1, v1, v8
	s_waitcnt lgkmcnt(1)
	v_add_f32_e32 v7, v9, v7
	s_waitcnt lgkmcnt(0)
	v_add_f32_e32 v1, v1, v8
	ds_bpermute_b32 v8, v2, v7
	ds_bpermute_b32 v2, v2, v1
	s_waitcnt lgkmcnt(1)
	v_add_f32_e32 v7, v7, v8
	s_waitcnt lgkmcnt(0)
	v_add_f32_e32 v1, v1, v2
	ds_bpermute_b32 v2, v4, v7
	ds_bpermute_b32 v4, v4, v1
	s_waitcnt lgkmcnt(0)
	v_dual_add_f32 v2, v7, v2 :: v_dual_add_f32 v1, v1, v4
	ds_bpermute_b32 v4, v5, v2
	ds_bpermute_b32 v5, v5, v1
	s_waitcnt lgkmcnt(0)
	v_dual_add_f32 v2, v2, v4 :: v_dual_add_f32 v1, v1, v5
	ds_bpermute_b32 v5, v6, v2
	ds_bpermute_b32 v4, v6, v1
	s_and_saveexec_b32 s2, vcc_lo
	s_cbranch_execz .LBB1_9
; %bb.7:
	s_waitcnt lgkmcnt(0)
	v_dual_add_f32 v2, v2, v5 :: v_dual_add_f32 v1, v1, v4
	v_cvt_f32_i32_e32 v6, s12
	s_load_b32 s0, s[0:1], 0x30
	s_mul_i32 s1, s9, s15
	s_add_i32 s3, s27, s25
	s_add_i32 s1, s1, s14
	v_div_scale_f32 v4, null, v6, v6, v2
	v_div_scale_f32 v5, null, v6, v6, v1
	v_div_scale_f32 v11, vcc_lo, v2, v6, v2
	s_delay_alu instid0(VALU_DEP_3) | instskip(NEXT) | instid1(VALU_DEP_2)
	v_rcp_f32_e32 v7, v4
	v_rcp_f32_e32 v8, v5
	s_add_i32 s17, s3, s24
	s_waitcnt_depctr 0xfff
	v_fma_f32 v9, -v4, v7, 1.0
	v_fma_f32 v10, -v5, v8, 1.0
	s_delay_alu instid0(VALU_DEP_1) | instskip(SKIP_1) | instid1(VALU_DEP_2)
	v_dual_fmac_f32 v7, v9, v7 :: v_dual_fmac_f32 v8, v10, v8
	v_div_scale_f32 v9, s2, v1, v6, v1
	v_mul_f32_e32 v10, v11, v7
	s_delay_alu instid0(VALU_DEP_2) | instskip(NEXT) | instid1(VALU_DEP_2)
	v_mul_f32_e32 v12, v9, v8
	v_fma_f32 v13, -v4, v10, v11
	s_delay_alu instid0(VALU_DEP_2) | instskip(NEXT) | instid1(VALU_DEP_2)
	v_fma_f32 v14, -v5, v12, v9
	v_fmac_f32_e32 v10, v13, v7
	s_delay_alu instid0(VALU_DEP_2) | instskip(NEXT) | instid1(VALU_DEP_2)
	v_fmac_f32_e32 v12, v14, v8
	v_fma_f32 v4, -v4, v10, v11
	s_delay_alu instid0(VALU_DEP_2) | instskip(NEXT) | instid1(VALU_DEP_2)
	v_fma_f32 v5, -v5, v12, v9
	v_div_fmas_f32 v4, v4, v7, v10
	s_mov_b32 vcc_lo, s2
	s_add_i32 s2, s28, s26
	s_delay_alu instid0(VALU_DEP_2) | instskip(SKIP_3) | instid1(VALU_DEP_2)
	v_div_fmas_f32 v7, v5, v8, v12
	s_add_i32 s19, s2, s23
	v_div_fixup_f32 v5, v4, v6, v2
	s_mul_i32 s2, s1, s8
	v_div_fixup_f32 v1, v7, v6, v1
	s_add_i32 s8, s2, s13
	s_lshl_b64 s[2:3], s[16:17], 2
	s_mul_i32 s8, s8, s12
	s_delay_alu instid0(VALU_DEP_1) | instskip(SKIP_2) | instid1(VALU_DEP_1)
	v_fma_f32 v1, -v5, v5, v1
	s_ashr_i32 s9, s8, 31
	s_waitcnt lgkmcnt(0)
	v_add_f32_e32 v1, s0, v1
	s_lshl_b64 s[0:1], s[18:19], 2
	s_delay_alu instid0(SALU_CYCLE_1) | instskip(SKIP_1) | instid1(VALU_DEP_1)
	s_add_u32 s2, s0, s2
	s_addc_u32 s3, s1, s3
	v_mul_f32_e32 v2, 0x4b800000, v1
	v_cmp_gt_f32_e32 vcc_lo, 0x800000, v1
	s_add_i32 s0, s22, s20
	s_delay_alu instid0(SALU_CYCLE_1) | instskip(NEXT) | instid1(VALU_DEP_2)
	s_add_i32 s11, s0, s21
	v_cndmask_b32_e32 v1, v1, v2, vcc_lo
	s_lshl_b64 s[0:1], s[10:11], 2
	s_delay_alu instid0(SALU_CYCLE_1) | instskip(SKIP_1) | instid1(VALU_DEP_1)
	s_add_u32 s0, s2, s0
	s_addc_u32 s1, s3, s1
	v_rsq_f32_e32 v4, v1
	s_add_u32 s2, s4, s0
	s_addc_u32 s3, s5, s1
	s_lshl_b64 s[0:1], s[8:9], 2
	v_add_co_u32 v1, s2, s2, v3
	s_add_u32 s0, s6, s0
	s_addc_u32 s1, s7, s1
	v_add_co_u32 v3, s0, s0, v3
	s_waitcnt_depctr 0xfff
	v_mul_f32_e32 v6, 0x45800000, v4
	v_add_co_ci_u32_e64 v2, null, s3, 0, s2
	s_delay_alu instid0(VALU_DEP_2)
	v_cndmask_b32_e32 v6, v4, v6, vcc_lo
	v_add_co_ci_u32_e64 v4, null, s1, 0, s0
	s_mov_b32 s1, 0
	.p2align	6
.LBB1_8:                                ; =>This Inner Loop Header: Depth=1
	global_load_b32 v7, v[1:2], off
	v_add_nc_u32_e32 v0, 0x400, v0
	v_add_co_u32 v1, vcc_lo, 0x1000, v1
	v_add_co_ci_u32_e32 v2, vcc_lo, 0, v2, vcc_lo
	s_waitcnt vmcnt(0)
	v_sub_f32_e32 v7, v7, v5
	v_cmp_le_i32_e32 vcc_lo, s12, v0
	s_delay_alu instid0(VALU_DEP_2) | instskip(SKIP_3) | instid1(VALU_DEP_1)
	v_mul_f32_e32 v7, v6, v7
	s_or_b32 s1, vcc_lo, s1
	global_store_b32 v[3:4], v7, off
	v_add_co_u32 v3, s0, 0x1000, v3
	v_add_co_ci_u32_e64 v4, s0, 0, v4, s0
	s_and_not1_b32 exec_lo, exec_lo, s1
	s_cbranch_execnz .LBB1_8
.LBB1_9:
	s_nop 0
	s_sendmsg sendmsg(MSG_DEALLOC_VGPRS)
	s_endpgm
	.section	.rodata,"a",@progbits
	.p2align	6, 0x0
	.amdhsa_kernel _ZL8norm_f32ILi1024EEvPKfPfilllf
		.amdhsa_group_segment_fixed_size 0
		.amdhsa_private_segment_fixed_size 0
		.amdhsa_kernarg_size 312
		.amdhsa_user_sgpr_count 13
		.amdhsa_user_sgpr_dispatch_ptr 0
		.amdhsa_user_sgpr_queue_ptr 0
		.amdhsa_user_sgpr_kernarg_segment_ptr 1
		.amdhsa_user_sgpr_dispatch_id 0
		.amdhsa_user_sgpr_private_segment_size 0
		.amdhsa_wavefront_size32 1
		.amdhsa_uses_dynamic_stack 0
		.amdhsa_enable_private_segment 0
		.amdhsa_system_sgpr_workgroup_id_x 1
		.amdhsa_system_sgpr_workgroup_id_y 1
		.amdhsa_system_sgpr_workgroup_id_z 1
		.amdhsa_system_sgpr_workgroup_info 0
		.amdhsa_system_vgpr_workitem_id 0
		.amdhsa_next_free_vgpr 15
		.amdhsa_next_free_sgpr 40
		.amdhsa_reserve_vcc 1
		.amdhsa_float_round_mode_32 0
		.amdhsa_float_round_mode_16_64 0
		.amdhsa_float_denorm_mode_32 3
		.amdhsa_float_denorm_mode_16_64 3
		.amdhsa_dx10_clamp 1
		.amdhsa_ieee_mode 1
		.amdhsa_fp16_overflow 0
		.amdhsa_workgroup_processor_mode 1
		.amdhsa_memory_ordered 1
		.amdhsa_forward_progress 0
		.amdhsa_shared_vgpr_count 0
		.amdhsa_exception_fp_ieee_invalid_op 0
		.amdhsa_exception_fp_denorm_src 0
		.amdhsa_exception_fp_ieee_div_zero 0
		.amdhsa_exception_fp_ieee_overflow 0
		.amdhsa_exception_fp_ieee_underflow 0
		.amdhsa_exception_fp_ieee_inexact 0
		.amdhsa_exception_int_div_zero 0
	.end_amdhsa_kernel
	.section	.text._ZL8norm_f32ILi1024EEvPKfPfilllf,"axG",@progbits,_ZL8norm_f32ILi1024EEvPKfPfilllf,comdat
.Lfunc_end1:
	.size	_ZL8norm_f32ILi1024EEvPKfPfilllf, .Lfunc_end1-_ZL8norm_f32ILi1024EEvPKfPfilllf
                                        ; -- End function
	.section	.AMDGPU.csdata,"",@progbits
; Kernel info:
; codeLenInByte = 1356
; NumSgprs: 42
; NumVgprs: 15
; ScratchSize: 0
; MemoryBound: 0
; FloatMode: 240
; IeeeMode: 1
; LDSByteSize: 0 bytes/workgroup (compile time only)
; SGPRBlocks: 5
; VGPRBlocks: 1
; NumSGPRsForWavesPerEU: 42
; NumVGPRsForWavesPerEU: 15
; Occupancy: 16
; WaveLimiterHint : 0
; COMPUTE_PGM_RSRC2:SCRATCH_EN: 0
; COMPUTE_PGM_RSRC2:USER_SGPR: 13
; COMPUTE_PGM_RSRC2:TRAP_HANDLER: 0
; COMPUTE_PGM_RSRC2:TGID_X_EN: 1
; COMPUTE_PGM_RSRC2:TGID_Y_EN: 1
; COMPUTE_PGM_RSRC2:TGID_Z_EN: 1
; COMPUTE_PGM_RSRC2:TIDIG_COMP_CNT: 0
	.section	.text._ZL14group_norm_f32ILi32EEvPKfPfiif,"axG",@progbits,_ZL14group_norm_f32ILi32EEvPKfPfiif,comdat
	.globl	_ZL14group_norm_f32ILi32EEvPKfPfiif ; -- Begin function _ZL14group_norm_f32ILi32EEvPKfPfiif
	.p2align	8
	.type	_ZL14group_norm_f32ILi32EEvPKfPfiif,@function
_ZL14group_norm_f32ILi32EEvPKfPfiif:    ; @_ZL14group_norm_f32ILi32EEvPKfPfiif
; %bb.0:
	s_load_b256 s[4:11], s[0:1], 0x0
	s_waitcnt lgkmcnt(0)
	s_mul_i32 s0, s15, s8
	v_cvt_f64_i32_e32 v[1:2], s9
	s_add_i32 s1, s0, s8
	v_add_nc_u32_e32 v0, s0, v0
	v_cvt_f64_u32_e32 v[3:4], s1
	s_delay_alu instid0(VALU_DEP_1) | instskip(SKIP_1) | instid1(VALU_DEP_2)
	v_min_f64 v[1:2], v[3:4], v[1:2]
	v_mov_b32_e32 v4, 0
	v_cvt_i32_f64_e32 v6, v[1:2]
	v_ashrrev_i32_e32 v1, 31, v0
	s_delay_alu instid0(VALU_DEP_2) | instskip(NEXT) | instid1(VALU_DEP_1)
	v_cmp_lt_i32_e64 s0, v0, v6
	s_and_saveexec_b32 s2, s0
	s_cbranch_execz .LBB2_4
; %bb.1:
	s_delay_alu instid0(VALU_DEP_2) | instskip(SKIP_2) | instid1(VALU_DEP_2)
	v_lshlrev_b64 v[2:3], 2, v[0:1]
	v_dual_mov_b32 v4, 0 :: v_dual_mov_b32 v5, v0
	s_mov_b32 s3, 0
	v_add_co_u32 v2, vcc_lo, s4, v2
	s_delay_alu instid0(VALU_DEP_3)
	v_add_co_ci_u32_e32 v3, vcc_lo, s5, v3, vcc_lo
.LBB2_2:                                ; =>This Inner Loop Header: Depth=1
	global_load_b32 v7, v[2:3], off
	v_add_nc_u32_e32 v5, 32, v5
	v_add_co_u32 v2, vcc_lo, 0x80, v2
	v_add_co_ci_u32_e32 v3, vcc_lo, 0, v3, vcc_lo
	s_waitcnt vmcnt(0)
	v_add_f32_e32 v4, v4, v7
	v_cmp_ge_i32_e64 s1, v5, v6
	s_delay_alu instid0(VALU_DEP_1) | instskip(NEXT) | instid1(SALU_CYCLE_1)
	s_or_b32 s3, s1, s3
	s_and_not1_b32 exec_lo, exec_lo, s3
	s_cbranch_execnz .LBB2_2
; %bb.3:
	s_or_b32 exec_lo, exec_lo, s3
.LBB2_4:
	s_delay_alu instid0(SALU_CYCLE_1) | instskip(SKIP_4) | instid1(VALU_DEP_3)
	s_or_b32 exec_lo, exec_lo, s2
	v_mbcnt_lo_u32_b32 v2, -1, 0
	v_cvt_f32_i32_e32 v8, s8
	v_mov_b32_e32 v13, 0
	s_mov_b32 s3, 0
	v_xor_b32_e32 v3, 16, v2
	v_xor_b32_e32 v5, 8, v2
	s_delay_alu instid0(VALU_DEP_2) | instskip(SKIP_1) | instid1(VALU_DEP_3)
	v_cmp_gt_i32_e32 vcc_lo, 32, v3
	v_cndmask_b32_e32 v3, v2, v3, vcc_lo
	v_cmp_gt_i32_e32 vcc_lo, 32, v5
	v_cndmask_b32_e32 v5, v2, v5, vcc_lo
	s_delay_alu instid0(VALU_DEP_1) | instskip(SKIP_1) | instid1(VALU_DEP_1)
	v_lshlrev_b32_e32 v9, 2, v5
	v_xor_b32_e32 v5, 4, v2
	v_cmp_gt_i32_e32 vcc_lo, 32, v5
	v_cndmask_b32_e32 v5, v2, v5, vcc_lo
	s_delay_alu instid0(VALU_DEP_1)
	v_lshlrev_b32_e32 v10, 2, v5
	v_lshlrev_b32_e32 v7, 2, v3
	v_xor_b32_e32 v5, 2, v2
	ds_bpermute_b32 v3, v7, v4
	v_cmp_gt_i32_e32 vcc_lo, 32, v5
	v_cndmask_b32_e32 v5, v2, v5, vcc_lo
	s_delay_alu instid0(VALU_DEP_1) | instskip(SKIP_1) | instid1(VALU_DEP_1)
	v_lshlrev_b32_e32 v11, 2, v5
	v_xor_b32_e32 v5, 1, v2
	v_cmp_gt_i32_e32 vcc_lo, 32, v5
	v_cndmask_b32_e32 v5, v2, v5, vcc_lo
	s_waitcnt lgkmcnt(0)
	s_delay_alu instid0(VALU_DEP_1)
	v_dual_add_f32 v3, v4, v3 :: v_dual_lshlrev_b32 v12, 2, v5
	ds_bpermute_b32 v4, v9, v3
	s_waitcnt lgkmcnt(0)
	v_add_f32_e32 v3, v3, v4
	ds_bpermute_b32 v4, v10, v3
	s_waitcnt lgkmcnt(0)
	v_add_f32_e32 v3, v3, v4
	;; [unrolled: 3-line block ×3, first 2 shown]
	ds_bpermute_b32 v3, v12, v2
	s_and_saveexec_b32 s2, s0
	s_cbranch_execz .LBB2_8
; %bb.5:
	s_waitcnt lgkmcnt(0)
	v_dual_add_f32 v14, v2, v3 :: v_dual_mov_b32 v13, 0
	v_lshlrev_b64 v[4:5], 2, v[0:1]
	s_delay_alu instid0(VALU_DEP_2) | instskip(SKIP_1) | instid1(VALU_DEP_2)
	v_div_scale_f32 v2, null, v8, v8, v14
	v_div_scale_f32 v16, vcc_lo, v14, v8, v14
	v_rcp_f32_e32 v15, v2
	s_waitcnt_depctr 0xfff
	v_fma_f32 v3, -v2, v15, 1.0
	s_delay_alu instid0(VALU_DEP_1) | instskip(NEXT) | instid1(VALU_DEP_1)
	v_fmac_f32_e32 v15, v3, v15
	v_mul_f32_e32 v17, v16, v15
	s_delay_alu instid0(VALU_DEP_1) | instskip(NEXT) | instid1(VALU_DEP_1)
	v_fma_f32 v3, -v2, v17, v16
	v_fmac_f32_e32 v17, v3, v15
	s_delay_alu instid0(VALU_DEP_1) | instskip(SKIP_1) | instid1(VALU_DEP_1)
	v_fma_f32 v16, -v2, v17, v16
	v_add_co_u32 v2, s1, s4, v4
	v_add_co_ci_u32_e64 v3, s1, s5, v5, s1
	s_delay_alu instid0(VALU_DEP_3) | instskip(SKIP_2) | instid1(VALU_DEP_3)
	v_div_fmas_f32 v15, v16, v15, v17
	v_add_co_u32 v4, vcc_lo, s6, v4
	v_add_co_ci_u32_e32 v5, vcc_lo, s7, v5, vcc_lo
	v_div_fixup_f32 v14, v15, v8, v14
	v_mov_b32_e32 v15, v0
	.p2align	6
.LBB2_6:                                ; =>This Inner Loop Header: Depth=1
	global_load_b32 v16, v[2:3], off
	v_add_nc_u32_e32 v15, 32, v15
	v_add_co_u32 v2, vcc_lo, 0x80, v2
	v_add_co_ci_u32_e32 v3, vcc_lo, 0, v3, vcc_lo
	s_waitcnt vmcnt(0)
	v_sub_f32_e32 v16, v16, v14
	v_cmp_ge_i32_e32 vcc_lo, v15, v6
	global_store_b32 v[4:5], v16, off
	v_add_co_u32 v4, s1, 0x80, v4
	v_fmac_f32_e32 v13, v16, v16
	v_add_co_ci_u32_e64 v5, s1, 0, v5, s1
	s_or_b32 s3, vcc_lo, s3
	s_delay_alu instid0(SALU_CYCLE_1)
	s_and_not1_b32 exec_lo, exec_lo, s3
	s_cbranch_execnz .LBB2_6
; %bb.7:
	s_or_b32 exec_lo, exec_lo, s3
.LBB2_8:
	s_delay_alu instid0(SALU_CYCLE_1)
	s_or_b32 exec_lo, exec_lo, s2
	ds_bpermute_b32 v2, v7, v13
	s_waitcnt lgkmcnt(0)
	v_add_f32_e32 v2, v13, v2
	ds_bpermute_b32 v3, v9, v2
	s_waitcnt lgkmcnt(0)
	v_add_f32_e32 v2, v2, v3
	;; [unrolled: 3-line block ×4, first 2 shown]
	ds_bpermute_b32 v3, v12, v2
	s_and_saveexec_b32 s1, s0
	s_cbranch_execz .LBB2_11
; %bb.9:
	s_waitcnt lgkmcnt(0)
	v_add_f32_e32 v2, v2, v3
	s_mov_b32 s1, 0
	s_delay_alu instid0(VALU_DEP_1) | instskip(SKIP_1) | instid1(VALU_DEP_2)
	v_div_scale_f32 v3, null, v8, v8, v2
	v_div_scale_f32 v7, vcc_lo, v2, v8, v2
	v_rcp_f32_e32 v4, v3
	s_waitcnt_depctr 0xfff
	v_fma_f32 v5, -v3, v4, 1.0
	s_delay_alu instid0(VALU_DEP_1) | instskip(NEXT) | instid1(VALU_DEP_1)
	v_fmac_f32_e32 v4, v5, v4
	v_mul_f32_e32 v5, v7, v4
	s_delay_alu instid0(VALU_DEP_1) | instskip(NEXT) | instid1(VALU_DEP_1)
	v_fma_f32 v9, -v3, v5, v7
	v_fmac_f32_e32 v5, v9, v4
	s_delay_alu instid0(VALU_DEP_1) | instskip(NEXT) | instid1(VALU_DEP_1)
	v_fma_f32 v3, -v3, v5, v7
	v_div_fmas_f32 v3, v3, v4, v5
	s_delay_alu instid0(VALU_DEP_1) | instskip(NEXT) | instid1(VALU_DEP_1)
	v_div_fixup_f32 v2, v3, v8, v2
	v_add_f32_e32 v2, s10, v2
	s_delay_alu instid0(VALU_DEP_1) | instskip(SKIP_1) | instid1(VALU_DEP_2)
	v_mul_f32_e32 v3, 0x4b800000, v2
	v_cmp_gt_f32_e32 vcc_lo, 0x800000, v2
	v_cndmask_b32_e32 v2, v2, v3, vcc_lo
	s_delay_alu instid0(VALU_DEP_1) | instskip(SKIP_3) | instid1(VALU_DEP_1)
	v_rsq_f32_e32 v3, v2
	v_lshlrev_b64 v[1:2], 2, v[0:1]
	s_waitcnt_depctr 0xfff
	v_mul_f32_e32 v4, 0x45800000, v3
	v_cndmask_b32_e32 v3, v3, v4, vcc_lo
	v_add_co_u32 v1, vcc_lo, s6, v1
	v_add_co_ci_u32_e32 v2, vcc_lo, s7, v2, vcc_lo
.LBB2_10:                               ; =>This Inner Loop Header: Depth=1
	global_load_b32 v4, v[1:2], off
	v_add_nc_u32_e32 v0, 32, v0
	s_delay_alu instid0(VALU_DEP_1)
	v_cmp_ge_i32_e32 vcc_lo, v0, v6
	s_or_b32 s1, vcc_lo, s1
	s_waitcnt vmcnt(0)
	v_mul_f32_e32 v4, v3, v4
	global_store_b32 v[1:2], v4, off
	v_add_co_u32 v1, s0, 0x80, v1
	s_delay_alu instid0(VALU_DEP_1)
	v_add_co_ci_u32_e64 v2, s0, 0, v2, s0
	s_and_not1_b32 exec_lo, exec_lo, s1
	s_cbranch_execnz .LBB2_10
.LBB2_11:
	s_nop 0
	s_sendmsg sendmsg(MSG_DEALLOC_VGPRS)
	s_endpgm
	.section	.rodata,"a",@progbits
	.p2align	6, 0x0
	.amdhsa_kernel _ZL14group_norm_f32ILi32EEvPKfPfiif
		.amdhsa_group_segment_fixed_size 0
		.amdhsa_private_segment_fixed_size 0
		.amdhsa_kernarg_size 28
		.amdhsa_user_sgpr_count 15
		.amdhsa_user_sgpr_dispatch_ptr 0
		.amdhsa_user_sgpr_queue_ptr 0
		.amdhsa_user_sgpr_kernarg_segment_ptr 1
		.amdhsa_user_sgpr_dispatch_id 0
		.amdhsa_user_sgpr_private_segment_size 0
		.amdhsa_wavefront_size32 1
		.amdhsa_uses_dynamic_stack 0
		.amdhsa_enable_private_segment 0
		.amdhsa_system_sgpr_workgroup_id_x 1
		.amdhsa_system_sgpr_workgroup_id_y 0
		.amdhsa_system_sgpr_workgroup_id_z 0
		.amdhsa_system_sgpr_workgroup_info 0
		.amdhsa_system_vgpr_workitem_id 0
		.amdhsa_next_free_vgpr 18
		.amdhsa_next_free_sgpr 16
		.amdhsa_reserve_vcc 1
		.amdhsa_float_round_mode_32 0
		.amdhsa_float_round_mode_16_64 0
		.amdhsa_float_denorm_mode_32 3
		.amdhsa_float_denorm_mode_16_64 3
		.amdhsa_dx10_clamp 1
		.amdhsa_ieee_mode 1
		.amdhsa_fp16_overflow 0
		.amdhsa_workgroup_processor_mode 1
		.amdhsa_memory_ordered 1
		.amdhsa_forward_progress 0
		.amdhsa_shared_vgpr_count 0
		.amdhsa_exception_fp_ieee_invalid_op 0
		.amdhsa_exception_fp_denorm_src 0
		.amdhsa_exception_fp_ieee_div_zero 0
		.amdhsa_exception_fp_ieee_overflow 0
		.amdhsa_exception_fp_ieee_underflow 0
		.amdhsa_exception_fp_ieee_inexact 0
		.amdhsa_exception_int_div_zero 0
	.end_amdhsa_kernel
	.section	.text._ZL14group_norm_f32ILi32EEvPKfPfiif,"axG",@progbits,_ZL14group_norm_f32ILi32EEvPKfPfiif,comdat
.Lfunc_end2:
	.size	_ZL14group_norm_f32ILi32EEvPKfPfiif, .Lfunc_end2-_ZL14group_norm_f32ILi32EEvPKfPfiif
                                        ; -- End function
	.section	.AMDGPU.csdata,"",@progbits
; Kernel info:
; codeLenInByte = 980
; NumSgprs: 18
; NumVgprs: 18
; ScratchSize: 0
; MemoryBound: 0
; FloatMode: 240
; IeeeMode: 1
; LDSByteSize: 0 bytes/workgroup (compile time only)
; SGPRBlocks: 2
; VGPRBlocks: 2
; NumSGPRsForWavesPerEU: 18
; NumVGPRsForWavesPerEU: 18
; Occupancy: 16
; WaveLimiterHint : 0
; COMPUTE_PGM_RSRC2:SCRATCH_EN: 0
; COMPUTE_PGM_RSRC2:USER_SGPR: 15
; COMPUTE_PGM_RSRC2:TRAP_HANDLER: 0
; COMPUTE_PGM_RSRC2:TGID_X_EN: 1
; COMPUTE_PGM_RSRC2:TGID_Y_EN: 0
; COMPUTE_PGM_RSRC2:TGID_Z_EN: 0
; COMPUTE_PGM_RSRC2:TIDIG_COMP_CNT: 0
	.section	.text._ZL14group_norm_f32ILi1024EEvPKfPfiif,"axG",@progbits,_ZL14group_norm_f32ILi1024EEvPKfPfiif,comdat
	.globl	_ZL14group_norm_f32ILi1024EEvPKfPfiif ; -- Begin function _ZL14group_norm_f32ILi1024EEvPKfPfiif
	.p2align	8
	.type	_ZL14group_norm_f32ILi1024EEvPKfPfiif,@function
_ZL14group_norm_f32ILi1024EEvPKfPfiif:  ; @_ZL14group_norm_f32ILi1024EEvPKfPfiif
; %bb.0:
	s_load_b256 s[4:11], s[0:1], 0x0
	v_mov_b32_e32 v5, 0
	s_waitcnt lgkmcnt(0)
	s_mul_i32 s0, s15, s8
	v_cvt_f64_i32_e32 v[1:2], s9
	s_add_i32 s1, s0, s8
	s_delay_alu instid0(SALU_CYCLE_1) | instskip(NEXT) | instid1(VALU_DEP_1)
	v_cvt_f64_u32_e32 v[3:4], s1
	v_min_f64 v[1:2], v[3:4], v[1:2]
	s_delay_alu instid0(VALU_DEP_1) | instskip(SKIP_1) | instid1(VALU_DEP_1)
	v_cvt_i32_f64_e32 v7, v[1:2]
	v_add_nc_u32_e32 v1, s0, v0
	v_ashrrev_i32_e32 v2, 31, v1
	s_delay_alu instid0(VALU_DEP_3) | instskip(NEXT) | instid1(VALU_DEP_1)
	v_cmp_lt_i32_e64 s0, v1, v7
	s_and_saveexec_b32 s2, s0
	s_cbranch_execz .LBB3_4
; %bb.1:
	s_delay_alu instid0(VALU_DEP_2) | instskip(SKIP_2) | instid1(VALU_DEP_2)
	v_lshlrev_b64 v[3:4], 2, v[1:2]
	v_dual_mov_b32 v5, 0 :: v_dual_mov_b32 v6, v1
	s_mov_b32 s3, 0
	v_add_co_u32 v3, vcc_lo, s4, v3
	s_delay_alu instid0(VALU_DEP_3)
	v_add_co_ci_u32_e32 v4, vcc_lo, s5, v4, vcc_lo
.LBB3_2:                                ; =>This Inner Loop Header: Depth=1
	global_load_b32 v8, v[3:4], off
	v_add_nc_u32_e32 v6, 0x400, v6
	v_add_co_u32 v3, vcc_lo, 0x1000, v3
	v_add_co_ci_u32_e32 v4, vcc_lo, 0, v4, vcc_lo
	s_waitcnt vmcnt(0)
	v_add_f32_e32 v5, v5, v8
	v_cmp_ge_i32_e64 s1, v6, v7
	s_delay_alu instid0(VALU_DEP_1) | instskip(NEXT) | instid1(SALU_CYCLE_1)
	s_or_b32 s3, s1, s3
	s_and_not1_b32 exec_lo, exec_lo, s3
	s_cbranch_execnz .LBB3_2
; %bb.3:
	s_or_b32 exec_lo, exec_lo, s3
.LBB3_4:
	s_delay_alu instid0(SALU_CYCLE_1) | instskip(SKIP_2) | instid1(VALU_DEP_2)
	s_or_b32 exec_lo, exec_lo, s2
	v_mbcnt_lo_u32_b32 v3, -1, 0
	v_lshrrev_b32_e32 v13, 3, v0
	v_xor_b32_e32 v4, 16, v3
	v_xor_b32_e32 v6, 8, v3
	s_delay_alu instid0(VALU_DEP_2) | instskip(SKIP_1) | instid1(VALU_DEP_3)
	v_cmp_gt_i32_e32 vcc_lo, 32, v4
	v_cndmask_b32_e32 v4, v3, v4, vcc_lo
	v_cmp_gt_i32_e32 vcc_lo, 32, v6
	v_cndmask_b32_e32 v6, v3, v6, vcc_lo
	s_delay_alu instid0(VALU_DEP_1) | instskip(SKIP_1) | instid1(VALU_DEP_1)
	v_lshlrev_b32_e32 v9, 2, v6
	v_xor_b32_e32 v6, 4, v3
	v_cmp_gt_i32_e32 vcc_lo, 32, v6
	v_cndmask_b32_e32 v6, v3, v6, vcc_lo
	s_delay_alu instid0(VALU_DEP_1) | instskip(SKIP_1) | instid1(VALU_DEP_1)
	v_lshlrev_b32_e32 v10, 2, v6
	v_xor_b32_e32 v6, 2, v3
	;; [unrolled: 5-line block ×3, first 2 shown]
	v_cmp_gt_i32_e32 vcc_lo, 32, v6
	v_dual_cndmask_b32 v3, v3, v6 :: v_dual_lshlrev_b32 v8, 2, v4
	ds_bpermute_b32 v4, v8, v5
	v_lshlrev_b32_e32 v12, 2, v3
	v_and_b32_e32 v3, 31, v0
	s_delay_alu instid0(VALU_DEP_1)
	v_cmp_eq_u32_e64 s1, 0, v3
	s_waitcnt lgkmcnt(0)
	v_add_f32_e32 v4, v5, v4
	ds_bpermute_b32 v5, v9, v4
	s_waitcnt lgkmcnt(0)
	v_add_f32_e32 v4, v4, v5
	ds_bpermute_b32 v5, v10, v4
	s_waitcnt lgkmcnt(0)
	v_add_f32_e32 v4, v4, v5
	ds_bpermute_b32 v5, v11, v4
	s_waitcnt lgkmcnt(0)
	v_add_f32_e32 v4, v4, v5
	ds_bpermute_b32 v5, v12, v4
	s_and_saveexec_b32 s2, s1
	s_cbranch_execz .LBB3_6
; %bb.5:
	s_waitcnt lgkmcnt(0)
	v_add_f32_e32 v0, v4, v5
	v_add_nc_u32_e32 v4, 0, v13
	ds_store_b32 v4, v0
.LBB3_6:
	s_or_b32 exec_lo, exec_lo, s2
	v_lshl_add_u32 v14, v3, 2, 0
	s_waitcnt lgkmcnt(0)
	s_barrier
	buffer_gl0_inv
	v_mov_b32_e32 v15, 0
	ds_load_b32 v0, v14
	s_waitcnt lgkmcnt(0)
	ds_bpermute_b32 v3, v8, v0
	s_waitcnt lgkmcnt(0)
	v_add_f32_e32 v0, v0, v3
	ds_bpermute_b32 v3, v9, v0
	s_waitcnt lgkmcnt(0)
	v_add_f32_e32 v0, v0, v3
	;; [unrolled: 3-line block ×4, first 2 shown]
	v_cvt_f32_i32_e32 v0, s8
	ds_bpermute_b32 v4, v12, v3
	s_and_saveexec_b32 s3, s0
	s_cbranch_execz .LBB3_10
; %bb.7:
	s_waitcnt lgkmcnt(0)
	v_add_f32_e32 v16, v3, v4
	v_lshlrev_b64 v[5:6], 2, v[1:2]
	v_mov_b32_e32 v15, 0
	s_delay_alu instid0(VALU_DEP_3) | instskip(NEXT) | instid1(VALU_DEP_1)
	v_div_scale_f32 v3, null, v0, v0, v16
	v_rcp_f32_e32 v17, v3
	s_waitcnt_depctr 0xfff
	v_fma_f32 v4, -v3, v17, 1.0
	s_delay_alu instid0(VALU_DEP_1) | instskip(SKIP_1) | instid1(VALU_DEP_1)
	v_fmac_f32_e32 v17, v4, v17
	v_div_scale_f32 v18, vcc_lo, v16, v0, v16
	v_mul_f32_e32 v19, v18, v17
	s_delay_alu instid0(VALU_DEP_1) | instskip(NEXT) | instid1(VALU_DEP_1)
	v_fma_f32 v4, -v3, v19, v18
	v_fmac_f32_e32 v19, v4, v17
	s_delay_alu instid0(VALU_DEP_1) | instskip(SKIP_1) | instid1(VALU_DEP_1)
	v_fma_f32 v18, -v3, v19, v18
	v_add_co_u32 v3, s2, s4, v5
	v_add_co_ci_u32_e64 v4, s2, s5, v6, s2
	s_delay_alu instid0(VALU_DEP_3) | instskip(SKIP_2) | instid1(VALU_DEP_3)
	v_div_fmas_f32 v17, v18, v17, v19
	v_add_co_u32 v5, vcc_lo, s6, v5
	v_add_co_ci_u32_e32 v6, vcc_lo, s7, v6, vcc_lo
	v_div_fixup_f32 v16, v17, v0, v16
	v_mov_b32_e32 v17, v1
	s_mov_b32 s4, 0
	.p2align	6
.LBB3_8:                                ; =>This Inner Loop Header: Depth=1
	global_load_b32 v18, v[3:4], off
	v_add_nc_u32_e32 v17, 0x400, v17
	v_add_co_u32 v3, vcc_lo, 0x1000, v3
	v_add_co_ci_u32_e32 v4, vcc_lo, 0, v4, vcc_lo
	s_waitcnt vmcnt(0)
	v_sub_f32_e32 v18, v18, v16
	v_cmp_ge_i32_e32 vcc_lo, v17, v7
	global_store_b32 v[5:6], v18, off
	v_add_co_u32 v5, s2, 0x1000, v5
	v_fmac_f32_e32 v15, v18, v18
	v_add_co_ci_u32_e64 v6, s2, 0, v6, s2
	s_or_b32 s4, vcc_lo, s4
	s_delay_alu instid0(SALU_CYCLE_1)
	s_and_not1_b32 exec_lo, exec_lo, s4
	s_cbranch_execnz .LBB3_8
; %bb.9:
	s_or_b32 exec_lo, exec_lo, s4
.LBB3_10:
	s_delay_alu instid0(SALU_CYCLE_1)
	s_or_b32 exec_lo, exec_lo, s3
	ds_bpermute_b32 v3, v8, v15
	s_waitcnt lgkmcnt(0)
	v_add_f32_e32 v3, v15, v3
	ds_bpermute_b32 v4, v9, v3
	s_waitcnt lgkmcnt(0)
	v_add_f32_e32 v3, v3, v4
	;; [unrolled: 3-line block ×4, first 2 shown]
	ds_bpermute_b32 v4, v12, v3
	s_and_saveexec_b32 s2, s1
	s_cbranch_execz .LBB3_12
; %bb.11:
	s_waitcnt lgkmcnt(0)
	v_dual_add_f32 v3, v3, v4 :: v_dual_add_nc_u32 v4, 0, v13
	ds_store_b32 v4, v3
.LBB3_12:
	s_or_b32 exec_lo, exec_lo, s2
	s_waitcnt lgkmcnt(0)
	s_waitcnt_vscnt null, 0x0
	s_barrier
	buffer_gl0_inv
	ds_load_b32 v3, v14
	s_waitcnt lgkmcnt(0)
	ds_bpermute_b32 v4, v8, v3
	s_waitcnt lgkmcnt(0)
	v_add_f32_e32 v3, v3, v4
	ds_bpermute_b32 v4, v9, v3
	s_waitcnt lgkmcnt(0)
	v_add_f32_e32 v3, v3, v4
	;; [unrolled: 3-line block ×4, first 2 shown]
	ds_bpermute_b32 v4, v12, v3
	s_and_saveexec_b32 s1, s0
	s_cbranch_execz .LBB3_15
; %bb.13:
	s_waitcnt lgkmcnt(0)
	v_add_f32_e32 v3, v3, v4
	s_mov_b32 s1, 0
	s_delay_alu instid0(VALU_DEP_1) | instskip(SKIP_1) | instid1(VALU_DEP_2)
	v_div_scale_f32 v4, null, v0, v0, v3
	v_div_scale_f32 v8, vcc_lo, v3, v0, v3
	v_rcp_f32_e32 v5, v4
	s_waitcnt_depctr 0xfff
	v_fma_f32 v6, -v4, v5, 1.0
	s_delay_alu instid0(VALU_DEP_1) | instskip(NEXT) | instid1(VALU_DEP_1)
	v_fmac_f32_e32 v5, v6, v5
	v_mul_f32_e32 v6, v8, v5
	s_delay_alu instid0(VALU_DEP_1) | instskip(NEXT) | instid1(VALU_DEP_1)
	v_fma_f32 v9, -v4, v6, v8
	v_fmac_f32_e32 v6, v9, v5
	s_delay_alu instid0(VALU_DEP_1) | instskip(NEXT) | instid1(VALU_DEP_1)
	v_fma_f32 v4, -v4, v6, v8
	v_div_fmas_f32 v4, v4, v5, v6
	s_delay_alu instid0(VALU_DEP_1) | instskip(NEXT) | instid1(VALU_DEP_1)
	v_div_fixup_f32 v0, v4, v0, v3
	v_add_f32_e32 v0, s10, v0
	s_delay_alu instid0(VALU_DEP_1) | instskip(SKIP_1) | instid1(VALU_DEP_2)
	v_mul_f32_e32 v3, 0x4b800000, v0
	v_cmp_gt_f32_e32 vcc_lo, 0x800000, v0
	v_cndmask_b32_e32 v0, v0, v3, vcc_lo
	v_lshlrev_b64 v[2:3], 2, v[1:2]
	s_delay_alu instid0(VALU_DEP_2) | instskip(SKIP_2) | instid1(VALU_DEP_1)
	v_rsq_f32_e32 v0, v0
	s_waitcnt_depctr 0xfff
	v_mul_f32_e32 v4, 0x45800000, v0
	v_cndmask_b32_e32 v0, v0, v4, vcc_lo
	v_add_co_u32 v2, vcc_lo, s6, v2
	v_add_co_ci_u32_e32 v3, vcc_lo, s7, v3, vcc_lo
.LBB3_14:                               ; =>This Inner Loop Header: Depth=1
	global_load_b32 v4, v[2:3], off
	s_waitcnt vmcnt(0)
	v_dual_mul_f32 v4, v0, v4 :: v_dual_add_nc_u32 v1, 0x400, v1
	s_delay_alu instid0(VALU_DEP_1) | instskip(SKIP_2) | instid1(VALU_DEP_1)
	v_cmp_ge_i32_e32 vcc_lo, v1, v7
	global_store_b32 v[2:3], v4, off
	v_add_co_u32 v2, s0, 0x1000, v2
	v_add_co_ci_u32_e64 v3, s0, 0, v3, s0
	s_or_b32 s1, vcc_lo, s1
	s_delay_alu instid0(SALU_CYCLE_1)
	s_and_not1_b32 exec_lo, exec_lo, s1
	s_cbranch_execnz .LBB3_14
.LBB3_15:
	s_nop 0
	s_sendmsg sendmsg(MSG_DEALLOC_VGPRS)
	s_endpgm
	.section	.rodata,"a",@progbits
	.p2align	6, 0x0
	.amdhsa_kernel _ZL14group_norm_f32ILi1024EEvPKfPfiif
		.amdhsa_group_segment_fixed_size 0
		.amdhsa_private_segment_fixed_size 0
		.amdhsa_kernarg_size 28
		.amdhsa_user_sgpr_count 15
		.amdhsa_user_sgpr_dispatch_ptr 0
		.amdhsa_user_sgpr_queue_ptr 0
		.amdhsa_user_sgpr_kernarg_segment_ptr 1
		.amdhsa_user_sgpr_dispatch_id 0
		.amdhsa_user_sgpr_private_segment_size 0
		.amdhsa_wavefront_size32 1
		.amdhsa_uses_dynamic_stack 0
		.amdhsa_enable_private_segment 0
		.amdhsa_system_sgpr_workgroup_id_x 1
		.amdhsa_system_sgpr_workgroup_id_y 0
		.amdhsa_system_sgpr_workgroup_id_z 0
		.amdhsa_system_sgpr_workgroup_info 0
		.amdhsa_system_vgpr_workitem_id 0
		.amdhsa_next_free_vgpr 20
		.amdhsa_next_free_sgpr 16
		.amdhsa_reserve_vcc 1
		.amdhsa_float_round_mode_32 0
		.amdhsa_float_round_mode_16_64 0
		.amdhsa_float_denorm_mode_32 3
		.amdhsa_float_denorm_mode_16_64 3
		.amdhsa_dx10_clamp 1
		.amdhsa_ieee_mode 1
		.amdhsa_fp16_overflow 0
		.amdhsa_workgroup_processor_mode 1
		.amdhsa_memory_ordered 1
		.amdhsa_forward_progress 0
		.amdhsa_shared_vgpr_count 0
		.amdhsa_exception_fp_ieee_invalid_op 0
		.amdhsa_exception_fp_denorm_src 0
		.amdhsa_exception_fp_ieee_div_zero 0
		.amdhsa_exception_fp_ieee_overflow 0
		.amdhsa_exception_fp_ieee_underflow 0
		.amdhsa_exception_fp_ieee_inexact 0
		.amdhsa_exception_int_div_zero 0
	.end_amdhsa_kernel
	.section	.text._ZL14group_norm_f32ILi1024EEvPKfPfiif,"axG",@progbits,_ZL14group_norm_f32ILi1024EEvPKfPfiif,comdat
.Lfunc_end3:
	.size	_ZL14group_norm_f32ILi1024EEvPKfPfiif, .Lfunc_end3-_ZL14group_norm_f32ILi1024EEvPKfPfiif
                                        ; -- End function
	.section	.AMDGPU.csdata,"",@progbits
; Kernel info:
; codeLenInByte = 1288
; NumSgprs: 18
; NumVgprs: 20
; ScratchSize: 0
; MemoryBound: 0
; FloatMode: 240
; IeeeMode: 1
; LDSByteSize: 0 bytes/workgroup (compile time only)
; SGPRBlocks: 2
; VGPRBlocks: 2
; NumSGPRsForWavesPerEU: 18
; NumVGPRsForWavesPerEU: 20
; Occupancy: 16
; WaveLimiterHint : 0
; COMPUTE_PGM_RSRC2:SCRATCH_EN: 0
; COMPUTE_PGM_RSRC2:USER_SGPR: 15
; COMPUTE_PGM_RSRC2:TRAP_HANDLER: 0
; COMPUTE_PGM_RSRC2:TGID_X_EN: 1
; COMPUTE_PGM_RSRC2:TGID_Y_EN: 0
; COMPUTE_PGM_RSRC2:TGID_Z_EN: 0
; COMPUTE_PGM_RSRC2:TIDIG_COMP_CNT: 0
	.section	.text._ZL12rms_norm_f32ILi256ELb0ELb0EEvPKfPfilllfS1_lll15HIP_vector_typeIjLj3EES4_S4_S4_S1_lllS4_S4_S4_S4_,"axG",@progbits,_ZL12rms_norm_f32ILi256ELb0ELb0EEvPKfPfilllfS1_lll15HIP_vector_typeIjLj3EES4_S4_S4_S1_lllS4_S4_S4_S4_,comdat
	.globl	_ZL12rms_norm_f32ILi256ELb0ELb0EEvPKfPfilllfS1_lll15HIP_vector_typeIjLj3EES4_S4_S4_S1_lllS4_S4_S4_S4_ ; -- Begin function _ZL12rms_norm_f32ILi256ELb0ELb0EEvPKfPfilllfS1_lll15HIP_vector_typeIjLj3EES4_S4_S4_S1_lllS4_S4_S4_S4_
	.p2align	8
	.type	_ZL12rms_norm_f32ILi256ELb0ELb0EEvPKfPfilllfS1_lll15HIP_vector_typeIjLj3EES4_S4_S4_S1_lllS4_S4_S4_S4_,@function
_ZL12rms_norm_f32ILi256ELb0ELb0EEvPKfPfilllfS1_lll15HIP_vector_typeIjLj3EES4_S4_S4_S1_lllS4_S4_S4_S4_: ; @_ZL12rms_norm_f32ILi256ELb0ELb0EEvPKfPfilllfS1_lll15HIP_vector_typeIjLj3EES4_S4_S4_S1_lllS4_S4_S4_S4_
; %bb.0:
	s_clause 0x4
	s_load_b32 s12, s[0:1], 0x10
	s_load_b64 s[2:3], s[0:1], 0x28
	s_load_b128 s[36:39], s[0:1], 0x18
	s_load_b128 s[4:7], s[0:1], 0x0
	s_load_b64 s[8:9], s[0:1], 0xd8
	v_dual_mov_b32 v4, 0 :: v_dual_lshlrev_b32 v3, 2, v0
	s_ashr_i32 s10, s15, 31
	s_ashr_i32 s11, s14, 31
	;; [unrolled: 1-line block ×3, first 2 shown]
	s_waitcnt lgkmcnt(0)
	v_cmp_gt_i32_e32 vcc_lo, s12, v0
	s_mul_i32 s26, s2, s10
	s_mul_hi_u32 s28, s2, s15
	s_mul_i32 s23, s3, s15
	s_mul_i32 s18, s2, s15
	s_mul_i32 s25, s38, s11
	s_mul_hi_u32 s27, s38, s14
	s_mul_i32 s24, s39, s14
	s_mul_i32 s16, s38, s14
	;; [unrolled: 4-line block ×3, first 2 shown]
	s_and_saveexec_b32 s29, vcc_lo
	s_cbranch_execz .LBB4_4
; %bb.1:
	s_add_i32 s2, s28, s26
	s_add_i32 s3, s27, s25
	;; [unrolled: 1-line block ×4, first 2 shown]
	s_lshl_b64 s[2:3], s[18:19], 2
	s_lshl_b64 s[30:31], s[16:17], 2
	v_dual_mov_b32 v4, 0 :: v_dual_mov_b32 v5, v0
	s_add_u32 s17, s2, s30
	s_addc_u32 s19, s3, s31
	s_add_i32 s2, s22, s20
	s_delay_alu instid0(SALU_CYCLE_1) | instskip(NEXT) | instid1(SALU_CYCLE_1)
	s_add_i32 s11, s2, s21
	s_lshl_b64 s[2:3], s[10:11], 2
	s_mov_b32 s11, 0
	s_add_u32 s2, s17, s2
	s_addc_u32 s3, s19, s3
	s_add_u32 s2, s4, s2
	s_addc_u32 s3, s5, s3
	v_add_co_u32 v1, s2, s2, v3
	s_delay_alu instid0(VALU_DEP_1)
	v_add_co_ci_u32_e64 v2, null, s3, 0, s2
.LBB4_2:                                ; =>This Inner Loop Header: Depth=1
	global_load_b32 v6, v[1:2], off
	v_add_nc_u32_e32 v5, 0x100, v5
	v_add_co_u32 v1, s2, 0x400, v1
	s_delay_alu instid0(VALU_DEP_1) | instskip(SKIP_3) | instid1(VALU_DEP_1)
	v_add_co_ci_u32_e64 v2, s2, 0, v2, s2
	s_waitcnt vmcnt(0)
	v_fmac_f32_e32 v4, v6, v6
	v_cmp_le_i32_e64 s3, s12, v5
	s_or_b32 s11, s3, s11
	s_delay_alu instid0(SALU_CYCLE_1)
	s_and_not1_b32 exec_lo, exec_lo, s11
	s_cbranch_execnz .LBB4_2
; %bb.3:
	s_or_b32 exec_lo, exec_lo, s11
.LBB4_4:
	s_delay_alu instid0(SALU_CYCLE_1) | instskip(SKIP_2) | instid1(VALU_DEP_1)
	s_or_b32 exec_lo, exec_lo, s29
	v_mbcnt_lo_u32_b32 v6, -1, 0
	s_mov_b32 s3, exec_lo
	v_xor_b32_e32 v1, 16, v6
	v_xor_b32_e32 v2, 8, v6
	;; [unrolled: 1-line block ×3, first 2 shown]
	s_delay_alu instid0(VALU_DEP_3) | instskip(NEXT) | instid1(VALU_DEP_1)
	v_cmp_gt_i32_e64 s2, 32, v1
	v_cndmask_b32_e64 v1, v6, v1, s2
	s_delay_alu instid0(VALU_DEP_4) | instskip(NEXT) | instid1(VALU_DEP_2)
	v_cmp_gt_i32_e64 s2, 32, v2
	v_lshlrev_b32_e32 v1, 2, v1
	s_delay_alu instid0(VALU_DEP_2)
	v_cndmask_b32_e64 v2, v6, v2, s2
	ds_bpermute_b32 v5, v1, v4
	s_waitcnt lgkmcnt(0)
	v_dual_add_f32 v5, v4, v5 :: v_dual_lshlrev_b32 v2, 2, v2
	v_xor_b32_e32 v4, 4, v6
	ds_bpermute_b32 v7, v2, v5
	v_cmp_gt_i32_e64 s2, 32, v4
	s_delay_alu instid0(VALU_DEP_1) | instskip(SKIP_1) | instid1(VALU_DEP_1)
	v_cndmask_b32_e64 v4, v6, v4, s2
	s_waitcnt lgkmcnt(0)
	v_dual_add_f32 v7, v5, v7 :: v_dual_lshlrev_b32 v4, 2, v4
	v_xor_b32_e32 v5, 2, v6
	ds_bpermute_b32 v8, v4, v7
	v_cmp_gt_i32_e64 s2, 32, v5
	s_delay_alu instid0(VALU_DEP_1) | instskip(SKIP_1) | instid1(VALU_DEP_2)
	v_cndmask_b32_e64 v5, v6, v5, s2
	v_cmp_gt_i32_e64 s2, 32, v9
	v_lshlrev_b32_e32 v5, 2, v5
	s_delay_alu instid0(VALU_DEP_2) | instskip(SKIP_1) | instid1(VALU_DEP_1)
	v_cndmask_b32_e64 v6, v6, v9, s2
	s_waitcnt lgkmcnt(0)
	v_dual_add_f32 v7, v7, v8 :: v_dual_lshlrev_b32 v6, 2, v6
	ds_bpermute_b32 v8, v5, v7
	s_waitcnt lgkmcnt(0)
	v_add_f32_e32 v8, v7, v8
	v_and_b32_e32 v7, 31, v0
	ds_bpermute_b32 v9, v6, v8
	v_cmpx_eq_u32_e32 0, v7
	s_cbranch_execz .LBB4_6
; %bb.5:
	v_lshrrev_b32_e32 v10, 3, v0
	s_waitcnt lgkmcnt(0)
	s_delay_alu instid0(VALU_DEP_1)
	v_dual_add_f32 v8, v8, v9 :: v_dual_add_nc_u32 v9, 0, v10
	ds_store_b32 v9, v8
.LBB4_6:
	s_or_b32 exec_lo, exec_lo, s3
	v_mov_b32_e32 v8, 0
	s_mov_b32 s3, exec_lo
	s_waitcnt lgkmcnt(0)
	s_barrier
	buffer_gl0_inv
	v_cmpx_gt_u32_e32 8, v7
	s_cbranch_execz .LBB4_8
; %bb.7:
	v_lshl_add_u32 v7, v7, 2, 0
	ds_load_b32 v8, v7
.LBB4_8:
	s_or_b32 exec_lo, exec_lo, s3
	s_waitcnt lgkmcnt(0)
	ds_bpermute_b32 v1, v1, v8
	s_waitcnt lgkmcnt(0)
	v_add_f32_e32 v1, v8, v1
	ds_bpermute_b32 v2, v2, v1
	s_waitcnt lgkmcnt(0)
	v_add_f32_e32 v1, v1, v2
	;; [unrolled: 3-line block ×4, first 2 shown]
	ds_bpermute_b32 v2, v6, v1
	s_and_saveexec_b32 s2, vcc_lo
	s_cbranch_execz .LBB4_11
; %bb.9:
	s_waitcnt lgkmcnt(0)
	v_add_f32_e32 v1, v1, v2
	v_cvt_f32_i32_e32 v2, s12
	s_load_b32 s0, s[0:1], 0x30
	s_mul_i32 s1, s9, s15
	s_add_i32 s2, s28, s26
	s_add_i32 s1, s1, s14
	v_div_scale_f32 v4, null, v2, v2, v1
	v_div_scale_f32 v7, vcc_lo, v1, v2, v1
	s_add_i32 s19, s2, s23
	s_delay_alu instid0(VALU_DEP_2)
	v_rcp_f32_e32 v5, v4
	s_mul_i32 s2, s1, s8
	s_add_i32 s3, s27, s25
	s_add_i32 s8, s2, s13
	;; [unrolled: 1-line block ×3, first 2 shown]
	s_mul_i32 s8, s8, s12
	s_lshl_b64 s[2:3], s[16:17], 2
	s_ashr_i32 s9, s8, 31
	s_waitcnt_depctr 0xfff
	v_fma_f32 v6, -v4, v5, 1.0
	s_delay_alu instid0(VALU_DEP_1) | instskip(NEXT) | instid1(VALU_DEP_1)
	v_fmac_f32_e32 v5, v6, v5
	v_mul_f32_e32 v6, v7, v5
	s_delay_alu instid0(VALU_DEP_1) | instskip(NEXT) | instid1(VALU_DEP_1)
	v_fma_f32 v8, -v4, v6, v7
	v_fmac_f32_e32 v6, v8, v5
	s_delay_alu instid0(VALU_DEP_1) | instskip(NEXT) | instid1(VALU_DEP_1)
	v_fma_f32 v4, -v4, v6, v7
	v_div_fmas_f32 v4, v4, v5, v6
	s_delay_alu instid0(VALU_DEP_1) | instskip(SKIP_1) | instid1(VALU_DEP_1)
	v_div_fixup_f32 v1, v4, v2, v1
	s_waitcnt lgkmcnt(0)
	v_add_f32_e32 v1, s0, v1
	s_lshl_b64 s[0:1], s[18:19], 2
	s_delay_alu instid0(SALU_CYCLE_1) | instskip(SKIP_1) | instid1(VALU_DEP_1)
	s_add_u32 s2, s0, s2
	s_addc_u32 s3, s1, s3
	v_mul_f32_e32 v2, 0x4b800000, v1
	v_cmp_gt_f32_e32 vcc_lo, 0x800000, v1
	s_add_i32 s0, s22, s20
	s_delay_alu instid0(SALU_CYCLE_1) | instskip(NEXT) | instid1(VALU_DEP_2)
	s_add_i32 s11, s0, s21
	v_cndmask_b32_e32 v1, v1, v2, vcc_lo
	s_lshl_b64 s[0:1], s[10:11], 2
	s_delay_alu instid0(SALU_CYCLE_1) | instskip(SKIP_1) | instid1(VALU_DEP_1)
	s_add_u32 s0, s2, s0
	s_addc_u32 s1, s3, s1
	v_rsq_f32_e32 v4, v1
	s_add_u32 s2, s4, s0
	s_addc_u32 s3, s5, s1
	s_lshl_b64 s[0:1], s[8:9], 2
	v_add_co_u32 v1, s2, s2, v3
	s_add_u32 s0, s6, s0
	s_addc_u32 s1, s7, s1
	v_add_co_u32 v3, s0, s0, v3
	s_waitcnt_depctr 0xfff
	v_mul_f32_e32 v5, 0x45800000, v4
	v_add_co_ci_u32_e64 v2, null, s3, 0, s2
	s_delay_alu instid0(VALU_DEP_2)
	v_cndmask_b32_e32 v5, v4, v5, vcc_lo
	v_add_co_ci_u32_e64 v4, null, s1, 0, s0
	s_mov_b32 s1, 0
	.p2align	6
.LBB4_10:                               ; =>This Inner Loop Header: Depth=1
	global_load_b32 v6, v[1:2], off
	v_add_nc_u32_e32 v0, 0x100, v0
	v_add_co_u32 v1, vcc_lo, 0x400, v1
	v_add_co_ci_u32_e32 v2, vcc_lo, 0, v2, vcc_lo
	s_delay_alu instid0(VALU_DEP_3)
	v_cmp_le_i32_e32 vcc_lo, s12, v0
	s_or_b32 s1, vcc_lo, s1
	s_waitcnt vmcnt(0)
	v_mul_f32_e32 v6, v5, v6
	global_store_b32 v[3:4], v6, off
	v_add_co_u32 v3, s0, 0x400, v3
	s_delay_alu instid0(VALU_DEP_1)
	v_add_co_ci_u32_e64 v4, s0, 0, v4, s0
	s_and_not1_b32 exec_lo, exec_lo, s1
	s_cbranch_execnz .LBB4_10
.LBB4_11:
	s_nop 0
	s_sendmsg sendmsg(MSG_DEALLOC_VGPRS)
	s_endpgm
	.section	.rodata,"a",@progbits
	.p2align	6, 0x0
	.amdhsa_kernel _ZL12rms_norm_f32ILi256ELb0ELb0EEvPKfPfilllfS1_lll15HIP_vector_typeIjLj3EES4_S4_S4_S1_lllS4_S4_S4_S4_
		.amdhsa_group_segment_fixed_size 0
		.amdhsa_private_segment_fixed_size 0
		.amdhsa_kernarg_size 472
		.amdhsa_user_sgpr_count 13
		.amdhsa_user_sgpr_dispatch_ptr 0
		.amdhsa_user_sgpr_queue_ptr 0
		.amdhsa_user_sgpr_kernarg_segment_ptr 1
		.amdhsa_user_sgpr_dispatch_id 0
		.amdhsa_user_sgpr_private_segment_size 0
		.amdhsa_wavefront_size32 1
		.amdhsa_uses_dynamic_stack 0
		.amdhsa_enable_private_segment 0
		.amdhsa_system_sgpr_workgroup_id_x 1
		.amdhsa_system_sgpr_workgroup_id_y 1
		.amdhsa_system_sgpr_workgroup_id_z 1
		.amdhsa_system_sgpr_workgroup_info 0
		.amdhsa_system_vgpr_workitem_id 0
		.amdhsa_next_free_vgpr 11
		.amdhsa_next_free_sgpr 40
		.amdhsa_reserve_vcc 1
		.amdhsa_float_round_mode_32 0
		.amdhsa_float_round_mode_16_64 0
		.amdhsa_float_denorm_mode_32 3
		.amdhsa_float_denorm_mode_16_64 3
		.amdhsa_dx10_clamp 1
		.amdhsa_ieee_mode 1
		.amdhsa_fp16_overflow 0
		.amdhsa_workgroup_processor_mode 1
		.amdhsa_memory_ordered 1
		.amdhsa_forward_progress 0
		.amdhsa_shared_vgpr_count 0
		.amdhsa_exception_fp_ieee_invalid_op 0
		.amdhsa_exception_fp_denorm_src 0
		.amdhsa_exception_fp_ieee_div_zero 0
		.amdhsa_exception_fp_ieee_overflow 0
		.amdhsa_exception_fp_ieee_underflow 0
		.amdhsa_exception_fp_ieee_inexact 0
		.amdhsa_exception_int_div_zero 0
	.end_amdhsa_kernel
	.section	.text._ZL12rms_norm_f32ILi256ELb0ELb0EEvPKfPfilllfS1_lll15HIP_vector_typeIjLj3EES4_S4_S4_S1_lllS4_S4_S4_S4_,"axG",@progbits,_ZL12rms_norm_f32ILi256ELb0ELb0EEvPKfPfilllfS1_lll15HIP_vector_typeIjLj3EES4_S4_S4_S1_lllS4_S4_S4_S4_,comdat
.Lfunc_end4:
	.size	_ZL12rms_norm_f32ILi256ELb0ELb0EEvPKfPfilllfS1_lll15HIP_vector_typeIjLj3EES4_S4_S4_S1_lllS4_S4_S4_S4_, .Lfunc_end4-_ZL12rms_norm_f32ILi256ELb0ELb0EEvPKfPfilllfS1_lll15HIP_vector_typeIjLj3EES4_S4_S4_S1_lllS4_S4_S4_S4_
                                        ; -- End function
	.section	.AMDGPU.csdata,"",@progbits
; Kernel info:
; codeLenInByte = 1132
; NumSgprs: 42
; NumVgprs: 11
; ScratchSize: 0
; MemoryBound: 0
; FloatMode: 240
; IeeeMode: 1
; LDSByteSize: 0 bytes/workgroup (compile time only)
; SGPRBlocks: 5
; VGPRBlocks: 1
; NumSGPRsForWavesPerEU: 42
; NumVGPRsForWavesPerEU: 11
; Occupancy: 16
; WaveLimiterHint : 0
; COMPUTE_PGM_RSRC2:SCRATCH_EN: 0
; COMPUTE_PGM_RSRC2:USER_SGPR: 13
; COMPUTE_PGM_RSRC2:TRAP_HANDLER: 0
; COMPUTE_PGM_RSRC2:TGID_X_EN: 1
; COMPUTE_PGM_RSRC2:TGID_Y_EN: 1
; COMPUTE_PGM_RSRC2:TGID_Z_EN: 1
; COMPUTE_PGM_RSRC2:TIDIG_COMP_CNT: 0
	.section	.text._ZL12rms_norm_f32ILi1024ELb0ELb0EEvPKfPfilllfS1_lll15HIP_vector_typeIjLj3EES4_S4_S4_S1_lllS4_S4_S4_S4_,"axG",@progbits,_ZL12rms_norm_f32ILi1024ELb0ELb0EEvPKfPfilllfS1_lll15HIP_vector_typeIjLj3EES4_S4_S4_S1_lllS4_S4_S4_S4_,comdat
	.globl	_ZL12rms_norm_f32ILi1024ELb0ELb0EEvPKfPfilllfS1_lll15HIP_vector_typeIjLj3EES4_S4_S4_S1_lllS4_S4_S4_S4_ ; -- Begin function _ZL12rms_norm_f32ILi1024ELb0ELb0EEvPKfPfilllfS1_lll15HIP_vector_typeIjLj3EES4_S4_S4_S1_lllS4_S4_S4_S4_
	.p2align	8
	.type	_ZL12rms_norm_f32ILi1024ELb0ELb0EEvPKfPfilllfS1_lll15HIP_vector_typeIjLj3EES4_S4_S4_S1_lllS4_S4_S4_S4_,@function
_ZL12rms_norm_f32ILi1024ELb0ELb0EEvPKfPfilllfS1_lll15HIP_vector_typeIjLj3EES4_S4_S4_S1_lllS4_S4_S4_S4_: ; @_ZL12rms_norm_f32ILi1024ELb0ELb0EEvPKfPfilllfS1_lll15HIP_vector_typeIjLj3EES4_S4_S4_S1_lllS4_S4_S4_S4_
; %bb.0:
	s_clause 0x4
	s_load_b32 s12, s[0:1], 0x10
	s_load_b64 s[2:3], s[0:1], 0x28
	s_load_b128 s[36:39], s[0:1], 0x18
	s_load_b128 s[4:7], s[0:1], 0x0
	s_load_b64 s[8:9], s[0:1], 0xd8
	v_dual_mov_b32 v4, 0 :: v_dual_lshlrev_b32 v3, 2, v0
	s_ashr_i32 s10, s15, 31
	s_ashr_i32 s11, s14, 31
	;; [unrolled: 1-line block ×3, first 2 shown]
	s_waitcnt lgkmcnt(0)
	v_cmp_gt_i32_e32 vcc_lo, s12, v0
	s_mul_i32 s26, s2, s10
	s_mul_hi_u32 s28, s2, s15
	s_mul_i32 s23, s3, s15
	s_mul_i32 s18, s2, s15
	s_mul_i32 s25, s38, s11
	s_mul_hi_u32 s27, s38, s14
	s_mul_i32 s24, s39, s14
	s_mul_i32 s16, s38, s14
	s_mul_i32 s20, s36, s17
	s_mul_hi_u32 s22, s36, s13
	s_mul_i32 s21, s37, s13
	s_mul_i32 s10, s36, s13
	s_and_saveexec_b32 s29, vcc_lo
	s_cbranch_execz .LBB5_4
; %bb.1:
	s_add_i32 s2, s28, s26
	s_add_i32 s3, s27, s25
	;; [unrolled: 1-line block ×4, first 2 shown]
	s_lshl_b64 s[2:3], s[18:19], 2
	s_lshl_b64 s[30:31], s[16:17], 2
	v_dual_mov_b32 v4, 0 :: v_dual_mov_b32 v5, v0
	s_add_u32 s17, s2, s30
	s_addc_u32 s19, s3, s31
	s_add_i32 s2, s22, s20
	s_delay_alu instid0(SALU_CYCLE_1) | instskip(NEXT) | instid1(SALU_CYCLE_1)
	s_add_i32 s11, s2, s21
	s_lshl_b64 s[2:3], s[10:11], 2
	s_mov_b32 s11, 0
	s_add_u32 s2, s17, s2
	s_addc_u32 s3, s19, s3
	s_add_u32 s2, s4, s2
	s_addc_u32 s3, s5, s3
	v_add_co_u32 v1, s2, s2, v3
	s_delay_alu instid0(VALU_DEP_1)
	v_add_co_ci_u32_e64 v2, null, s3, 0, s2
.LBB5_2:                                ; =>This Inner Loop Header: Depth=1
	global_load_b32 v6, v[1:2], off
	v_add_nc_u32_e32 v5, 0x400, v5
	v_add_co_u32 v1, s2, 0x1000, v1
	s_delay_alu instid0(VALU_DEP_1) | instskip(SKIP_3) | instid1(VALU_DEP_1)
	v_add_co_ci_u32_e64 v2, s2, 0, v2, s2
	s_waitcnt vmcnt(0)
	v_fmac_f32_e32 v4, v6, v6
	v_cmp_le_i32_e64 s3, s12, v5
	s_or_b32 s11, s3, s11
	s_delay_alu instid0(SALU_CYCLE_1)
	s_and_not1_b32 exec_lo, exec_lo, s11
	s_cbranch_execnz .LBB5_2
; %bb.3:
	s_or_b32 exec_lo, exec_lo, s11
.LBB5_4:
	s_delay_alu instid0(SALU_CYCLE_1) | instskip(SKIP_2) | instid1(VALU_DEP_1)
	s_or_b32 exec_lo, exec_lo, s29
	v_mbcnt_lo_u32_b32 v6, -1, 0
	s_mov_b32 s3, exec_lo
	v_xor_b32_e32 v1, 16, v6
	v_xor_b32_e32 v2, 8, v6
	;; [unrolled: 1-line block ×3, first 2 shown]
	s_delay_alu instid0(VALU_DEP_3) | instskip(NEXT) | instid1(VALU_DEP_1)
	v_cmp_gt_i32_e64 s2, 32, v1
	v_cndmask_b32_e64 v1, v6, v1, s2
	s_delay_alu instid0(VALU_DEP_4) | instskip(NEXT) | instid1(VALU_DEP_2)
	v_cmp_gt_i32_e64 s2, 32, v2
	v_lshlrev_b32_e32 v1, 2, v1
	s_delay_alu instid0(VALU_DEP_2)
	v_cndmask_b32_e64 v2, v6, v2, s2
	ds_bpermute_b32 v5, v1, v4
	s_waitcnt lgkmcnt(0)
	v_dual_add_f32 v5, v4, v5 :: v_dual_lshlrev_b32 v2, 2, v2
	v_xor_b32_e32 v4, 4, v6
	ds_bpermute_b32 v7, v2, v5
	v_cmp_gt_i32_e64 s2, 32, v4
	s_delay_alu instid0(VALU_DEP_1) | instskip(SKIP_1) | instid1(VALU_DEP_1)
	v_cndmask_b32_e64 v4, v6, v4, s2
	s_waitcnt lgkmcnt(0)
	v_dual_add_f32 v7, v5, v7 :: v_dual_lshlrev_b32 v4, 2, v4
	v_xor_b32_e32 v5, 2, v6
	ds_bpermute_b32 v8, v4, v7
	v_cmp_gt_i32_e64 s2, 32, v5
	s_delay_alu instid0(VALU_DEP_1) | instskip(SKIP_1) | instid1(VALU_DEP_2)
	v_cndmask_b32_e64 v5, v6, v5, s2
	v_cmp_gt_i32_e64 s2, 32, v9
	v_lshlrev_b32_e32 v5, 2, v5
	s_delay_alu instid0(VALU_DEP_2) | instskip(SKIP_1) | instid1(VALU_DEP_1)
	v_cndmask_b32_e64 v6, v6, v9, s2
	s_waitcnt lgkmcnt(0)
	v_dual_add_f32 v7, v7, v8 :: v_dual_lshlrev_b32 v6, 2, v6
	ds_bpermute_b32 v8, v5, v7
	s_waitcnt lgkmcnt(0)
	v_add_f32_e32 v8, v7, v8
	v_and_b32_e32 v7, 31, v0
	ds_bpermute_b32 v9, v6, v8
	v_cmpx_eq_u32_e32 0, v7
	s_cbranch_execz .LBB5_6
; %bb.5:
	v_lshrrev_b32_e32 v10, 3, v0
	s_waitcnt lgkmcnt(0)
	s_delay_alu instid0(VALU_DEP_1)
	v_dual_add_f32 v8, v8, v9 :: v_dual_add_nc_u32 v9, 0, v10
	ds_store_b32 v9, v8
.LBB5_6:
	s_or_b32 exec_lo, exec_lo, s3
	v_lshl_add_u32 v7, v7, 2, 0
	s_waitcnt lgkmcnt(0)
	s_barrier
	buffer_gl0_inv
	ds_load_b32 v7, v7
	s_waitcnt lgkmcnt(0)
	ds_bpermute_b32 v1, v1, v7
	s_waitcnt lgkmcnt(0)
	v_add_f32_e32 v1, v7, v1
	ds_bpermute_b32 v2, v2, v1
	s_waitcnt lgkmcnt(0)
	v_add_f32_e32 v1, v1, v2
	;; [unrolled: 3-line block ×4, first 2 shown]
	ds_bpermute_b32 v2, v6, v1
	s_and_saveexec_b32 s2, vcc_lo
	s_cbranch_execz .LBB5_9
; %bb.7:
	s_waitcnt lgkmcnt(0)
	v_add_f32_e32 v1, v1, v2
	v_cvt_f32_i32_e32 v2, s12
	s_load_b32 s0, s[0:1], 0x30
	s_mul_i32 s1, s9, s15
	s_add_i32 s2, s28, s26
	s_add_i32 s1, s1, s14
	v_div_scale_f32 v4, null, v2, v2, v1
	v_div_scale_f32 v7, vcc_lo, v1, v2, v1
	s_add_i32 s19, s2, s23
	s_delay_alu instid0(VALU_DEP_2)
	v_rcp_f32_e32 v5, v4
	s_mul_i32 s2, s1, s8
	s_add_i32 s3, s27, s25
	s_add_i32 s8, s2, s13
	;; [unrolled: 1-line block ×3, first 2 shown]
	s_mul_i32 s8, s8, s12
	s_lshl_b64 s[2:3], s[16:17], 2
	s_ashr_i32 s9, s8, 31
	s_waitcnt_depctr 0xfff
	v_fma_f32 v6, -v4, v5, 1.0
	s_delay_alu instid0(VALU_DEP_1) | instskip(NEXT) | instid1(VALU_DEP_1)
	v_fmac_f32_e32 v5, v6, v5
	v_mul_f32_e32 v6, v7, v5
	s_delay_alu instid0(VALU_DEP_1) | instskip(NEXT) | instid1(VALU_DEP_1)
	v_fma_f32 v8, -v4, v6, v7
	v_fmac_f32_e32 v6, v8, v5
	s_delay_alu instid0(VALU_DEP_1) | instskip(NEXT) | instid1(VALU_DEP_1)
	v_fma_f32 v4, -v4, v6, v7
	v_div_fmas_f32 v4, v4, v5, v6
	s_delay_alu instid0(VALU_DEP_1) | instskip(SKIP_1) | instid1(VALU_DEP_1)
	v_div_fixup_f32 v1, v4, v2, v1
	s_waitcnt lgkmcnt(0)
	v_add_f32_e32 v1, s0, v1
	s_lshl_b64 s[0:1], s[18:19], 2
	s_delay_alu instid0(SALU_CYCLE_1) | instskip(SKIP_1) | instid1(VALU_DEP_1)
	s_add_u32 s2, s0, s2
	s_addc_u32 s3, s1, s3
	v_mul_f32_e32 v2, 0x4b800000, v1
	v_cmp_gt_f32_e32 vcc_lo, 0x800000, v1
	s_add_i32 s0, s22, s20
	s_delay_alu instid0(SALU_CYCLE_1) | instskip(NEXT) | instid1(VALU_DEP_2)
	s_add_i32 s11, s0, s21
	v_cndmask_b32_e32 v1, v1, v2, vcc_lo
	s_lshl_b64 s[0:1], s[10:11], 2
	s_delay_alu instid0(SALU_CYCLE_1) | instskip(SKIP_1) | instid1(VALU_DEP_1)
	s_add_u32 s0, s2, s0
	s_addc_u32 s1, s3, s1
	v_rsq_f32_e32 v4, v1
	s_add_u32 s2, s4, s0
	s_addc_u32 s3, s5, s1
	s_lshl_b64 s[0:1], s[8:9], 2
	v_add_co_u32 v1, s2, s2, v3
	s_add_u32 s0, s6, s0
	s_addc_u32 s1, s7, s1
	v_add_co_u32 v3, s0, s0, v3
	s_waitcnt_depctr 0xfff
	v_mul_f32_e32 v5, 0x45800000, v4
	v_add_co_ci_u32_e64 v2, null, s3, 0, s2
	s_delay_alu instid0(VALU_DEP_2)
	v_cndmask_b32_e32 v5, v4, v5, vcc_lo
	v_add_co_ci_u32_e64 v4, null, s1, 0, s0
	s_mov_b32 s1, 0
	.p2align	6
.LBB5_8:                                ; =>This Inner Loop Header: Depth=1
	global_load_b32 v6, v[1:2], off
	v_add_nc_u32_e32 v0, 0x400, v0
	v_add_co_u32 v1, vcc_lo, 0x1000, v1
	v_add_co_ci_u32_e32 v2, vcc_lo, 0, v2, vcc_lo
	s_delay_alu instid0(VALU_DEP_3)
	v_cmp_le_i32_e32 vcc_lo, s12, v0
	s_or_b32 s1, vcc_lo, s1
	s_waitcnt vmcnt(0)
	v_mul_f32_e32 v6, v5, v6
	global_store_b32 v[3:4], v6, off
	v_add_co_u32 v3, s0, 0x1000, v3
	s_delay_alu instid0(VALU_DEP_1)
	v_add_co_ci_u32_e64 v4, s0, 0, v4, s0
	s_and_not1_b32 exec_lo, exec_lo, s1
	s_cbranch_execnz .LBB5_8
.LBB5_9:
	s_nop 0
	s_sendmsg sendmsg(MSG_DEALLOC_VGPRS)
	s_endpgm
	.section	.rodata,"a",@progbits
	.p2align	6, 0x0
	.amdhsa_kernel _ZL12rms_norm_f32ILi1024ELb0ELb0EEvPKfPfilllfS1_lll15HIP_vector_typeIjLj3EES4_S4_S4_S1_lllS4_S4_S4_S4_
		.amdhsa_group_segment_fixed_size 0
		.amdhsa_private_segment_fixed_size 0
		.amdhsa_kernarg_size 472
		.amdhsa_user_sgpr_count 13
		.amdhsa_user_sgpr_dispatch_ptr 0
		.amdhsa_user_sgpr_queue_ptr 0
		.amdhsa_user_sgpr_kernarg_segment_ptr 1
		.amdhsa_user_sgpr_dispatch_id 0
		.amdhsa_user_sgpr_private_segment_size 0
		.amdhsa_wavefront_size32 1
		.amdhsa_uses_dynamic_stack 0
		.amdhsa_enable_private_segment 0
		.amdhsa_system_sgpr_workgroup_id_x 1
		.amdhsa_system_sgpr_workgroup_id_y 1
		.amdhsa_system_sgpr_workgroup_id_z 1
		.amdhsa_system_sgpr_workgroup_info 0
		.amdhsa_system_vgpr_workitem_id 0
		.amdhsa_next_free_vgpr 11
		.amdhsa_next_free_sgpr 40
		.amdhsa_reserve_vcc 1
		.amdhsa_float_round_mode_32 0
		.amdhsa_float_round_mode_16_64 0
		.amdhsa_float_denorm_mode_32 3
		.amdhsa_float_denorm_mode_16_64 3
		.amdhsa_dx10_clamp 1
		.amdhsa_ieee_mode 1
		.amdhsa_fp16_overflow 0
		.amdhsa_workgroup_processor_mode 1
		.amdhsa_memory_ordered 1
		.amdhsa_forward_progress 0
		.amdhsa_shared_vgpr_count 0
		.amdhsa_exception_fp_ieee_invalid_op 0
		.amdhsa_exception_fp_denorm_src 0
		.amdhsa_exception_fp_ieee_div_zero 0
		.amdhsa_exception_fp_ieee_overflow 0
		.amdhsa_exception_fp_ieee_underflow 0
		.amdhsa_exception_fp_ieee_inexact 0
		.amdhsa_exception_int_div_zero 0
	.end_amdhsa_kernel
	.section	.text._ZL12rms_norm_f32ILi1024ELb0ELb0EEvPKfPfilllfS1_lll15HIP_vector_typeIjLj3EES4_S4_S4_S1_lllS4_S4_S4_S4_,"axG",@progbits,_ZL12rms_norm_f32ILi1024ELb0ELb0EEvPKfPfilllfS1_lll15HIP_vector_typeIjLj3EES4_S4_S4_S1_lllS4_S4_S4_S4_,comdat
.Lfunc_end5:
	.size	_ZL12rms_norm_f32ILi1024ELb0ELb0EEvPKfPfilllfS1_lll15HIP_vector_typeIjLj3EES4_S4_S4_S1_lllS4_S4_S4_S4_, .Lfunc_end5-_ZL12rms_norm_f32ILi1024ELb0ELb0EEvPKfPfilllfS1_lll15HIP_vector_typeIjLj3EES4_S4_S4_S1_lllS4_S4_S4_S4_
                                        ; -- End function
	.section	.AMDGPU.csdata,"",@progbits
; Kernel info:
; codeLenInByte = 1112
; NumSgprs: 42
; NumVgprs: 11
; ScratchSize: 0
; MemoryBound: 0
; FloatMode: 240
; IeeeMode: 1
; LDSByteSize: 0 bytes/workgroup (compile time only)
; SGPRBlocks: 5
; VGPRBlocks: 1
; NumSGPRsForWavesPerEU: 42
; NumVGPRsForWavesPerEU: 11
; Occupancy: 16
; WaveLimiterHint : 0
; COMPUTE_PGM_RSRC2:SCRATCH_EN: 0
; COMPUTE_PGM_RSRC2:USER_SGPR: 13
; COMPUTE_PGM_RSRC2:TRAP_HANDLER: 0
; COMPUTE_PGM_RSRC2:TGID_X_EN: 1
; COMPUTE_PGM_RSRC2:TGID_Y_EN: 1
; COMPUTE_PGM_RSRC2:TGID_Z_EN: 1
; COMPUTE_PGM_RSRC2:TIDIG_COMP_CNT: 0
	.section	.text._ZL12rms_norm_f32ILi256ELb1ELb0EEvPKfPfilllfS1_lll15HIP_vector_typeIjLj3EES4_S4_S4_S1_lllS4_S4_S4_S4_,"axG",@progbits,_ZL12rms_norm_f32ILi256ELb1ELb0EEvPKfPfilllfS1_lll15HIP_vector_typeIjLj3EES4_S4_S4_S1_lllS4_S4_S4_S4_,comdat
	.globl	_ZL12rms_norm_f32ILi256ELb1ELb0EEvPKfPfilllfS1_lll15HIP_vector_typeIjLj3EES4_S4_S4_S1_lllS4_S4_S4_S4_ ; -- Begin function _ZL12rms_norm_f32ILi256ELb1ELb0EEvPKfPfilllfS1_lll15HIP_vector_typeIjLj3EES4_S4_S4_S1_lllS4_S4_S4_S4_
	.p2align	8
	.type	_ZL12rms_norm_f32ILi256ELb1ELb0EEvPKfPfilllfS1_lll15HIP_vector_typeIjLj3EES4_S4_S4_S1_lllS4_S4_S4_S4_,@function
_ZL12rms_norm_f32ILi256ELb1ELb0EEvPKfPfilllfS1_lll15HIP_vector_typeIjLj3EES4_S4_S4_S1_lllS4_S4_S4_S4_: ; @_ZL12rms_norm_f32ILi256ELb1ELb0EEvPKfPfilllfS1_lll15HIP_vector_typeIjLj3EES4_S4_S4_S1_lllS4_S4_S4_S4_
; %bb.0:
	s_clause 0x6
	s_load_b32 s12, s[0:1], 0x10
	s_load_b64 s[2:3], s[0:1], 0x28
	s_load_b128 s[16:19], s[0:1], 0x18
	s_load_b128 s[24:27], s[0:1], 0x0
	s_load_b256 s[4:11], s[0:1], 0x58
	s_load_b128 s[28:31], s[0:1], 0x78
	s_load_b64 s[40:41], s[0:1], 0xd8
	v_mov_b32_e32 v3, 0
	v_lshlrev_b32_e32 v5, 2, v0
	s_ashr_i32 s20, s15, 31
	s_ashr_i32 s21, s14, 31
	;; [unrolled: 1-line block ×3, first 2 shown]
	s_waitcnt lgkmcnt(0)
	v_cmp_gt_i32_e32 vcc_lo, s12, v0
	s_mul_i32 s48, s2, s20
	s_mul_hi_u32 s49, s2, s15
	s_mul_i32 s44, s3, s15
	s_mul_i32 s36, s2, s15
	s_mul_i32 s45, s18, s21
	s_mul_hi_u32 s47, s18, s14
	s_mul_i32 s46, s19, s14
	s_mul_i32 s38, s18, s14
	;; [unrolled: 4-line block ×3, first 2 shown]
	s_and_saveexec_b32 s16, vcc_lo
	s_cbranch_execz .LBB6_4
; %bb.1:
	s_add_i32 s2, s49, s48
	s_add_i32 s3, s47, s45
	;; [unrolled: 1-line block ×4, first 2 shown]
	s_lshl_b64 s[2:3], s[36:37], 2
	s_lshl_b64 s[18:19], s[38:39], 2
	v_dual_mov_b32 v3, 0 :: v_dual_mov_b32 v4, v0
	s_add_u32 s17, s2, s18
	s_addc_u32 s18, s3, s19
	s_add_i32 s2, s43, s33
	s_delay_alu instid0(SALU_CYCLE_1) | instskip(NEXT) | instid1(SALU_CYCLE_1)
	s_add_i32 s35, s2, s42
	s_lshl_b64 s[2:3], s[34:35], 2
	s_delay_alu instid0(SALU_CYCLE_1) | instskip(SKIP_4) | instid1(VALU_DEP_1)
	s_add_u32 s2, s17, s2
	s_addc_u32 s3, s18, s3
	s_add_u32 s2, s24, s2
	s_addc_u32 s3, s25, s3
	v_add_co_u32 v1, s2, s2, v5
	v_add_co_ci_u32_e64 v2, null, s3, 0, s2
	s_mov_b32 s17, 0
.LBB6_2:                                ; =>This Inner Loop Header: Depth=1
	global_load_b32 v6, v[1:2], off
	v_add_nc_u32_e32 v4, 0x100, v4
	v_add_co_u32 v1, s2, 0x400, v1
	s_delay_alu instid0(VALU_DEP_1) | instskip(SKIP_3) | instid1(VALU_DEP_1)
	v_add_co_ci_u32_e64 v2, s2, 0, v2, s2
	s_waitcnt vmcnt(0)
	v_fmac_f32_e32 v3, v6, v6
	v_cmp_le_i32_e64 s3, s12, v4
	s_or_b32 s17, s3, s17
	s_delay_alu instid0(SALU_CYCLE_1)
	s_and_not1_b32 exec_lo, exec_lo, s17
	s_cbranch_execnz .LBB6_2
; %bb.3:
	s_or_b32 exec_lo, exec_lo, s17
.LBB6_4:
	s_delay_alu instid0(SALU_CYCLE_1) | instskip(SKIP_2) | instid1(VALU_DEP_1)
	s_or_b32 exec_lo, exec_lo, s16
	v_mbcnt_lo_u32_b32 v6, -1, 0
	s_mov_b32 s3, exec_lo
	v_xor_b32_e32 v1, 16, v6
	v_xor_b32_e32 v2, 8, v6
	;; [unrolled: 1-line block ×3, first 2 shown]
	s_delay_alu instid0(VALU_DEP_3) | instskip(NEXT) | instid1(VALU_DEP_1)
	v_cmp_gt_i32_e64 s2, 32, v1
	v_cndmask_b32_e64 v1, v6, v1, s2
	s_delay_alu instid0(VALU_DEP_4) | instskip(NEXT) | instid1(VALU_DEP_2)
	v_cmp_gt_i32_e64 s2, 32, v2
	v_lshlrev_b32_e32 v1, 2, v1
	s_delay_alu instid0(VALU_DEP_2)
	v_cndmask_b32_e64 v2, v6, v2, s2
	ds_bpermute_b32 v4, v1, v3
	s_waitcnt lgkmcnt(0)
	v_add_f32_e32 v4, v3, v4
	v_lshlrev_b32_e32 v2, 2, v2
	v_xor_b32_e32 v3, 4, v6
	ds_bpermute_b32 v7, v2, v4
	v_cmp_gt_i32_e64 s2, 32, v3
	s_delay_alu instid0(VALU_DEP_1) | instskip(NEXT) | instid1(VALU_DEP_1)
	v_cndmask_b32_e64 v3, v6, v3, s2
	v_lshlrev_b32_e32 v3, 2, v3
	s_waitcnt lgkmcnt(0)
	v_add_f32_e32 v7, v4, v7
	v_xor_b32_e32 v4, 2, v6
	ds_bpermute_b32 v8, v3, v7
	v_cmp_gt_i32_e64 s2, 32, v4
	s_delay_alu instid0(VALU_DEP_1) | instskip(SKIP_1) | instid1(VALU_DEP_2)
	v_cndmask_b32_e64 v4, v6, v4, s2
	v_cmp_gt_i32_e64 s2, 32, v9
	v_lshlrev_b32_e32 v4, 2, v4
	s_delay_alu instid0(VALU_DEP_2) | instskip(SKIP_1) | instid1(VALU_DEP_1)
	v_cndmask_b32_e64 v6, v6, v9, s2
	s_waitcnt lgkmcnt(0)
	v_dual_add_f32 v7, v7, v8 :: v_dual_lshlrev_b32 v6, 2, v6
	ds_bpermute_b32 v8, v4, v7
	s_waitcnt lgkmcnt(0)
	v_add_f32_e32 v8, v7, v8
	v_and_b32_e32 v7, 31, v0
	ds_bpermute_b32 v9, v6, v8
	v_cmpx_eq_u32_e32 0, v7
	s_cbranch_execz .LBB6_6
; %bb.5:
	v_lshrrev_b32_e32 v10, 3, v0
	s_waitcnt lgkmcnt(0)
	s_delay_alu instid0(VALU_DEP_1)
	v_dual_add_f32 v8, v8, v9 :: v_dual_add_nc_u32 v9, 0, v10
	ds_store_b32 v9, v8
.LBB6_6:
	s_or_b32 exec_lo, exec_lo, s3
	v_mov_b32_e32 v8, 0
	s_mov_b32 s3, exec_lo
	s_waitcnt lgkmcnt(0)
	s_barrier
	buffer_gl0_inv
	v_cmpx_gt_u32_e32 8, v7
	s_cbranch_execz .LBB6_8
; %bb.7:
	v_lshl_add_u32 v7, v7, 2, 0
	ds_load_b32 v8, v7
.LBB6_8:
	s_or_b32 exec_lo, exec_lo, s3
	s_waitcnt lgkmcnt(0)
	ds_bpermute_b32 v1, v1, v8
	s_waitcnt lgkmcnt(0)
	v_add_f32_e32 v1, v8, v1
	ds_bpermute_b32 v2, v2, v1
	s_waitcnt lgkmcnt(0)
	v_add_f32_e32 v1, v1, v2
	;; [unrolled: 3-line block ×4, first 2 shown]
	ds_bpermute_b32 v2, v6, v1
	s_and_saveexec_b32 s2, vcc_lo
	s_cbranch_execz .LBB6_11
; %bb.9:
	s_waitcnt lgkmcnt(0)
	v_add_f32_e32 v1, v1, v2
	v_cvt_f32_i32_e32 v2, s12
	s_clause 0x1
	s_load_b32 s35, s[0:1], 0x30
	s_load_b256 s[16:23], s[0:1], 0x38
	s_mul_hi_u32 s2, s10, s14
	s_mul_hi_u32 s3, s29, s15
	v_div_scale_f32 v3, null, v2, v2, v1
	s_add_i32 s2, s14, s2
	s_add_i32 s3, s15, s3
	s_mul_hi_u32 s1, s7, s13
	s_delay_alu instid0(VALU_DEP_1)
	v_rcp_f32_e32 v4, v3
	s_lshr_b32 s2, s2, s11
	s_lshr_b32 s3, s3, s30
	s_mul_i32 s0, s41, s15
	s_add_i32 s1, s13, s1
	s_mul_i32 s2, s2, s28
	s_mul_i32 s3, s3, s31
	s_add_i32 s0, s0, s14
	s_lshr_b32 s1, s1, s8
	s_sub_i32 s8, s14, s2
	s_waitcnt_depctr 0xfff
	v_fma_f32 v6, -v3, v4, 1.0
	s_sub_i32 s2, s15, s3
	s_mul_i32 s0, s0, s40
	s_mul_i32 s1, s1, s9
	s_waitcnt lgkmcnt(0)
	s_mul_i32 s3, s2, s23
	v_fmac_f32_e32 v4, v6, v4
	v_div_scale_f32 v7, vcc_lo, v1, v2, v1
	s_mul_hi_u32 s9, s2, s22
	s_add_i32 s0, s0, s13
	s_sub_i32 s7, s13, s1
	s_delay_alu instid0(VALU_DEP_1)
	v_mul_f32_e32 v6, v7, v4
	s_mul_i32 s2, s2, s22
	s_add_i32 s3, s9, s3
	s_mul_i32 s0, s0, s12
	s_mul_i32 s10, s8, s21
	v_fma_f32 v8, -v3, v6, v7
	s_mul_hi_u32 s11, s8, s20
	s_mul_i32 s13, s7, s19
	s_mul_hi_u32 s14, s7, s18
	s_lshl_b64 s[2:3], s[2:3], 2
	v_fmac_f32_e32 v6, v8, v4
	s_ashr_i32 s1, s0, 31
	s_mul_i32 s8, s8, s20
	s_add_i32 s9, s11, s10
	s_add_i32 s11, s14, s13
	v_fma_f32 v3, -v3, v6, v7
	s_add_u32 s13, s16, s2
	s_addc_u32 s14, s17, s3
	s_lshl_b64 s[2:3], s[8:9], 2
	s_mul_i32 s10, s7, s18
	v_div_fmas_f32 v3, v3, v4, v6
	s_add_u32 s7, s13, s2
	s_addc_u32 s8, s14, s3
	s_lshl_b64 s[2:3], s[10:11], 2
	s_delay_alu instid0(VALU_DEP_1) | instskip(SKIP_3) | instid1(VALU_DEP_1)
	v_div_fixup_f32 v1, v3, v2, v1
	s_add_u32 s7, s7, s2
	s_addc_u32 s8, s8, s3
	s_lshl_b64 s[0:1], s[0:1], 2
	v_add_f32_e32 v1, s35, v1
	s_add_u32 s9, s26, s0
	s_addc_u32 s13, s27, s1
	s_add_i32 s0, s49, s48
	s_add_i32 s1, s47, s45
	v_cmp_gt_f32_e32 vcc_lo, 0x800000, v1
	v_mul_f32_e32 v2, 0x4b800000, v1
	s_add_i32 s37, s0, s44
	s_add_i32 s39, s1, s46
	s_lshl_b64 s[2:3], s[36:37], 2
	s_lshl_b64 s[10:11], s[38:39], 2
	v_cndmask_b32_e32 v1, v1, v2, vcc_lo
	s_add_u32 s10, s2, s10
	s_addc_u32 s11, s3, s11
	s_add_i32 s2, s43, s33
	s_mov_b32 s1, 0
	v_rsq_f32_e32 v3, v1
	s_add_i32 s35, s2, s42
	v_add_co_u32 v1, s2, s9, v5
	s_delay_alu instid0(VALU_DEP_1)
	v_add_co_ci_u32_e64 v2, null, s13, 0, s2
	s_lshl_b64 s[2:3], s[34:35], 2
	s_mov_b32 s0, s4
	s_add_u32 s2, s10, s2
	s_addc_u32 s3, s11, s3
	s_waitcnt_depctr 0xfff
	v_mul_f32_e32 v4, 0x45800000, v3
	s_add_u32 s2, s24, s2
	s_addc_u32 s3, s25, s3
	v_add_co_u32 v5, s2, s2, v5
	s_delay_alu instid0(VALU_DEP_2)
	v_cndmask_b32_e32 v7, v3, v4, vcc_lo
	v_mad_u64_u32 v[3:4], null, v0, s4, 0
	v_add_co_ci_u32_e64 v6, null, s3, 0, s2
	s_lshl_b64 s[2:3], s[0:1], 8
	s_sub_i32 s4, 0, s6
	s_set_inst_prefetch_distance 0x1
	.p2align	6
.LBB6_10:                               ; =>This Inner Loop Header: Depth=1
	s_delay_alu instid0(VALU_DEP_2) | instskip(NEXT) | instid1(VALU_DEP_1)
	v_add_nc_u32_e32 v8, v0, v4
	v_lshrrev_b32_e32 v10, s5, v8
	s_delay_alu instid0(VALU_DEP_1) | instskip(SKIP_3) | instid1(VALU_DEP_1)
	v_mad_u64_u32 v[8:9], null, s4, v10, v[0:1]
	global_load_b32 v10, v[5:6], off
	v_add_nc_u32_e32 v0, 0x100, v0
	v_ashrrev_i32_e32 v9, 31, v8
	v_lshlrev_b64 v[8:9], 2, v[8:9]
	s_delay_alu instid0(VALU_DEP_1) | instskip(NEXT) | instid1(VALU_DEP_2)
	v_add_co_u32 v8, vcc_lo, s7, v8
	v_add_co_ci_u32_e32 v9, vcc_lo, s8, v9, vcc_lo
	v_add_co_u32 v5, vcc_lo, 0x400, v5
	v_add_co_ci_u32_e32 v6, vcc_lo, 0, v6, vcc_lo
	global_load_b32 v8, v[8:9], off
	v_add_co_u32 v3, vcc_lo, v3, s2
	v_add_co_ci_u32_e32 v4, vcc_lo, s3, v4, vcc_lo
	v_cmp_le_i32_e32 vcc_lo, s12, v0
	s_or_b32 s1, vcc_lo, s1
	s_waitcnt vmcnt(1)
	v_mul_f32_e32 v9, v7, v10
	s_waitcnt vmcnt(0)
	s_delay_alu instid0(VALU_DEP_1) | instskip(SKIP_2) | instid1(VALU_DEP_1)
	v_mul_f32_e32 v8, v9, v8
	global_store_b32 v[1:2], v8, off
	v_add_co_u32 v1, s0, 0x400, v1
	v_add_co_ci_u32_e64 v2, s0, 0, v2, s0
	s_and_not1_b32 exec_lo, exec_lo, s1
	s_cbranch_execnz .LBB6_10
.LBB6_11:
	s_set_inst_prefetch_distance 0x2
	s_nop 0
	s_sendmsg sendmsg(MSG_DEALLOC_VGPRS)
	s_endpgm
	.section	.rodata,"a",@progbits
	.p2align	6, 0x0
	.amdhsa_kernel _ZL12rms_norm_f32ILi256ELb1ELb0EEvPKfPfilllfS1_lll15HIP_vector_typeIjLj3EES4_S4_S4_S1_lllS4_S4_S4_S4_
		.amdhsa_group_segment_fixed_size 0
		.amdhsa_private_segment_fixed_size 0
		.amdhsa_kernarg_size 472
		.amdhsa_user_sgpr_count 13
		.amdhsa_user_sgpr_dispatch_ptr 0
		.amdhsa_user_sgpr_queue_ptr 0
		.amdhsa_user_sgpr_kernarg_segment_ptr 1
		.amdhsa_user_sgpr_dispatch_id 0
		.amdhsa_user_sgpr_private_segment_size 0
		.amdhsa_wavefront_size32 1
		.amdhsa_uses_dynamic_stack 0
		.amdhsa_enable_private_segment 0
		.amdhsa_system_sgpr_workgroup_id_x 1
		.amdhsa_system_sgpr_workgroup_id_y 1
		.amdhsa_system_sgpr_workgroup_id_z 1
		.amdhsa_system_sgpr_workgroup_info 0
		.amdhsa_system_vgpr_workitem_id 0
		.amdhsa_next_free_vgpr 11
		.amdhsa_next_free_sgpr 50
		.amdhsa_reserve_vcc 1
		.amdhsa_float_round_mode_32 0
		.amdhsa_float_round_mode_16_64 0
		.amdhsa_float_denorm_mode_32 3
		.amdhsa_float_denorm_mode_16_64 3
		.amdhsa_dx10_clamp 1
		.amdhsa_ieee_mode 1
		.amdhsa_fp16_overflow 0
		.amdhsa_workgroup_processor_mode 1
		.amdhsa_memory_ordered 1
		.amdhsa_forward_progress 0
		.amdhsa_shared_vgpr_count 0
		.amdhsa_exception_fp_ieee_invalid_op 0
		.amdhsa_exception_fp_denorm_src 0
		.amdhsa_exception_fp_ieee_div_zero 0
		.amdhsa_exception_fp_ieee_overflow 0
		.amdhsa_exception_fp_ieee_underflow 0
		.amdhsa_exception_fp_ieee_inexact 0
		.amdhsa_exception_int_div_zero 0
	.end_amdhsa_kernel
	.section	.text._ZL12rms_norm_f32ILi256ELb1ELb0EEvPKfPfilllfS1_lll15HIP_vector_typeIjLj3EES4_S4_S4_S1_lllS4_S4_S4_S4_,"axG",@progbits,_ZL12rms_norm_f32ILi256ELb1ELb0EEvPKfPfilllfS1_lll15HIP_vector_typeIjLj3EES4_S4_S4_S1_lllS4_S4_S4_S4_,comdat
.Lfunc_end6:
	.size	_ZL12rms_norm_f32ILi256ELb1ELb0EEvPKfPfilllfS1_lll15HIP_vector_typeIjLj3EES4_S4_S4_S1_lllS4_S4_S4_S4_, .Lfunc_end6-_ZL12rms_norm_f32ILi256ELb1ELb0EEvPKfPfilllfS1_lll15HIP_vector_typeIjLj3EES4_S4_S4_S1_lllS4_S4_S4_S4_
                                        ; -- End function
	.section	.AMDGPU.csdata,"",@progbits
; Kernel info:
; codeLenInByte = 1392
; NumSgprs: 52
; NumVgprs: 11
; ScratchSize: 0
; MemoryBound: 0
; FloatMode: 240
; IeeeMode: 1
; LDSByteSize: 0 bytes/workgroup (compile time only)
; SGPRBlocks: 6
; VGPRBlocks: 1
; NumSGPRsForWavesPerEU: 52
; NumVGPRsForWavesPerEU: 11
; Occupancy: 16
; WaveLimiterHint : 0
; COMPUTE_PGM_RSRC2:SCRATCH_EN: 0
; COMPUTE_PGM_RSRC2:USER_SGPR: 13
; COMPUTE_PGM_RSRC2:TRAP_HANDLER: 0
; COMPUTE_PGM_RSRC2:TGID_X_EN: 1
; COMPUTE_PGM_RSRC2:TGID_Y_EN: 1
; COMPUTE_PGM_RSRC2:TGID_Z_EN: 1
; COMPUTE_PGM_RSRC2:TIDIG_COMP_CNT: 0
	.section	.text._ZL12rms_norm_f32ILi1024ELb1ELb0EEvPKfPfilllfS1_lll15HIP_vector_typeIjLj3EES4_S4_S4_S1_lllS4_S4_S4_S4_,"axG",@progbits,_ZL12rms_norm_f32ILi1024ELb1ELb0EEvPKfPfilllfS1_lll15HIP_vector_typeIjLj3EES4_S4_S4_S1_lllS4_S4_S4_S4_,comdat
	.globl	_ZL12rms_norm_f32ILi1024ELb1ELb0EEvPKfPfilllfS1_lll15HIP_vector_typeIjLj3EES4_S4_S4_S1_lllS4_S4_S4_S4_ ; -- Begin function _ZL12rms_norm_f32ILi1024ELb1ELb0EEvPKfPfilllfS1_lll15HIP_vector_typeIjLj3EES4_S4_S4_S1_lllS4_S4_S4_S4_
	.p2align	8
	.type	_ZL12rms_norm_f32ILi1024ELb1ELb0EEvPKfPfilllfS1_lll15HIP_vector_typeIjLj3EES4_S4_S4_S1_lllS4_S4_S4_S4_,@function
_ZL12rms_norm_f32ILi1024ELb1ELb0EEvPKfPfilllfS1_lll15HIP_vector_typeIjLj3EES4_S4_S4_S1_lllS4_S4_S4_S4_: ; @_ZL12rms_norm_f32ILi1024ELb1ELb0EEvPKfPfilllfS1_lll15HIP_vector_typeIjLj3EES4_S4_S4_S1_lllS4_S4_S4_S4_
; %bb.0:
	s_clause 0x6
	s_load_b32 s12, s[0:1], 0x10
	s_load_b64 s[2:3], s[0:1], 0x28
	s_load_b128 s[16:19], s[0:1], 0x18
	s_load_b128 s[24:27], s[0:1], 0x0
	s_load_b256 s[4:11], s[0:1], 0x58
	s_load_b128 s[28:31], s[0:1], 0x78
	s_load_b64 s[40:41], s[0:1], 0xd8
	v_mov_b32_e32 v3, 0
	v_lshlrev_b32_e32 v5, 2, v0
	s_ashr_i32 s20, s15, 31
	s_ashr_i32 s21, s14, 31
	;; [unrolled: 1-line block ×3, first 2 shown]
	s_waitcnt lgkmcnt(0)
	v_cmp_gt_i32_e32 vcc_lo, s12, v0
	s_mul_i32 s48, s2, s20
	s_mul_hi_u32 s49, s2, s15
	s_mul_i32 s44, s3, s15
	s_mul_i32 s36, s2, s15
	s_mul_i32 s45, s18, s21
	s_mul_hi_u32 s47, s18, s14
	s_mul_i32 s46, s19, s14
	s_mul_i32 s38, s18, s14
	;; [unrolled: 4-line block ×3, first 2 shown]
	s_and_saveexec_b32 s16, vcc_lo
	s_cbranch_execz .LBB7_4
; %bb.1:
	s_add_i32 s2, s49, s48
	s_add_i32 s3, s47, s45
	;; [unrolled: 1-line block ×4, first 2 shown]
	s_lshl_b64 s[2:3], s[36:37], 2
	s_lshl_b64 s[18:19], s[38:39], 2
	v_dual_mov_b32 v3, 0 :: v_dual_mov_b32 v4, v0
	s_add_u32 s17, s2, s18
	s_addc_u32 s18, s3, s19
	s_add_i32 s2, s43, s33
	s_delay_alu instid0(SALU_CYCLE_1) | instskip(NEXT) | instid1(SALU_CYCLE_1)
	s_add_i32 s35, s2, s42
	s_lshl_b64 s[2:3], s[34:35], 2
	s_delay_alu instid0(SALU_CYCLE_1) | instskip(SKIP_4) | instid1(VALU_DEP_1)
	s_add_u32 s2, s17, s2
	s_addc_u32 s3, s18, s3
	s_add_u32 s2, s24, s2
	s_addc_u32 s3, s25, s3
	v_add_co_u32 v1, s2, s2, v5
	v_add_co_ci_u32_e64 v2, null, s3, 0, s2
	s_mov_b32 s17, 0
.LBB7_2:                                ; =>This Inner Loop Header: Depth=1
	global_load_b32 v6, v[1:2], off
	v_add_nc_u32_e32 v4, 0x400, v4
	v_add_co_u32 v1, s2, 0x1000, v1
	s_delay_alu instid0(VALU_DEP_1) | instskip(SKIP_3) | instid1(VALU_DEP_1)
	v_add_co_ci_u32_e64 v2, s2, 0, v2, s2
	s_waitcnt vmcnt(0)
	v_fmac_f32_e32 v3, v6, v6
	v_cmp_le_i32_e64 s3, s12, v4
	s_or_b32 s17, s3, s17
	s_delay_alu instid0(SALU_CYCLE_1)
	s_and_not1_b32 exec_lo, exec_lo, s17
	s_cbranch_execnz .LBB7_2
; %bb.3:
	s_or_b32 exec_lo, exec_lo, s17
.LBB7_4:
	s_delay_alu instid0(SALU_CYCLE_1) | instskip(SKIP_2) | instid1(VALU_DEP_1)
	s_or_b32 exec_lo, exec_lo, s16
	v_mbcnt_lo_u32_b32 v6, -1, 0
	s_mov_b32 s3, exec_lo
	v_xor_b32_e32 v1, 16, v6
	v_xor_b32_e32 v2, 8, v6
	;; [unrolled: 1-line block ×3, first 2 shown]
	s_delay_alu instid0(VALU_DEP_3) | instskip(NEXT) | instid1(VALU_DEP_1)
	v_cmp_gt_i32_e64 s2, 32, v1
	v_cndmask_b32_e64 v1, v6, v1, s2
	s_delay_alu instid0(VALU_DEP_4) | instskip(NEXT) | instid1(VALU_DEP_2)
	v_cmp_gt_i32_e64 s2, 32, v2
	v_lshlrev_b32_e32 v1, 2, v1
	s_delay_alu instid0(VALU_DEP_2)
	v_cndmask_b32_e64 v2, v6, v2, s2
	ds_bpermute_b32 v4, v1, v3
	s_waitcnt lgkmcnt(0)
	v_add_f32_e32 v4, v3, v4
	v_lshlrev_b32_e32 v2, 2, v2
	v_xor_b32_e32 v3, 4, v6
	ds_bpermute_b32 v7, v2, v4
	v_cmp_gt_i32_e64 s2, 32, v3
	s_delay_alu instid0(VALU_DEP_1) | instskip(NEXT) | instid1(VALU_DEP_1)
	v_cndmask_b32_e64 v3, v6, v3, s2
	v_lshlrev_b32_e32 v3, 2, v3
	s_waitcnt lgkmcnt(0)
	v_add_f32_e32 v7, v4, v7
	v_xor_b32_e32 v4, 2, v6
	ds_bpermute_b32 v8, v3, v7
	v_cmp_gt_i32_e64 s2, 32, v4
	s_delay_alu instid0(VALU_DEP_1) | instskip(SKIP_1) | instid1(VALU_DEP_2)
	v_cndmask_b32_e64 v4, v6, v4, s2
	v_cmp_gt_i32_e64 s2, 32, v9
	v_lshlrev_b32_e32 v4, 2, v4
	s_delay_alu instid0(VALU_DEP_2) | instskip(SKIP_1) | instid1(VALU_DEP_1)
	v_cndmask_b32_e64 v6, v6, v9, s2
	s_waitcnt lgkmcnt(0)
	v_dual_add_f32 v7, v7, v8 :: v_dual_lshlrev_b32 v6, 2, v6
	ds_bpermute_b32 v8, v4, v7
	s_waitcnt lgkmcnt(0)
	v_add_f32_e32 v8, v7, v8
	v_and_b32_e32 v7, 31, v0
	ds_bpermute_b32 v9, v6, v8
	v_cmpx_eq_u32_e32 0, v7
	s_cbranch_execz .LBB7_6
; %bb.5:
	v_lshrrev_b32_e32 v10, 3, v0
	s_waitcnt lgkmcnt(0)
	s_delay_alu instid0(VALU_DEP_1)
	v_dual_add_f32 v8, v8, v9 :: v_dual_add_nc_u32 v9, 0, v10
	ds_store_b32 v9, v8
.LBB7_6:
	s_or_b32 exec_lo, exec_lo, s3
	v_lshl_add_u32 v7, v7, 2, 0
	s_waitcnt lgkmcnt(0)
	s_barrier
	buffer_gl0_inv
	ds_load_b32 v7, v7
	s_waitcnt lgkmcnt(0)
	ds_bpermute_b32 v1, v1, v7
	s_waitcnt lgkmcnt(0)
	v_add_f32_e32 v1, v7, v1
	ds_bpermute_b32 v2, v2, v1
	s_waitcnt lgkmcnt(0)
	v_add_f32_e32 v1, v1, v2
	;; [unrolled: 3-line block ×4, first 2 shown]
	ds_bpermute_b32 v2, v6, v1
	s_and_saveexec_b32 s2, vcc_lo
	s_cbranch_execz .LBB7_9
; %bb.7:
	s_waitcnt lgkmcnt(0)
	v_add_f32_e32 v1, v1, v2
	v_cvt_f32_i32_e32 v2, s12
	s_clause 0x1
	s_load_b32 s35, s[0:1], 0x30
	s_load_b256 s[16:23], s[0:1], 0x38
	s_mul_hi_u32 s2, s10, s14
	s_mul_hi_u32 s3, s29, s15
	v_div_scale_f32 v3, null, v2, v2, v1
	s_add_i32 s2, s14, s2
	s_add_i32 s3, s15, s3
	s_mul_hi_u32 s1, s7, s13
	s_delay_alu instid0(VALU_DEP_1)
	v_rcp_f32_e32 v4, v3
	s_lshr_b32 s2, s2, s11
	s_lshr_b32 s3, s3, s30
	s_mul_i32 s0, s41, s15
	s_add_i32 s1, s13, s1
	s_mul_i32 s2, s2, s28
	s_mul_i32 s3, s3, s31
	s_add_i32 s0, s0, s14
	s_lshr_b32 s1, s1, s8
	s_sub_i32 s8, s14, s2
	s_waitcnt_depctr 0xfff
	v_fma_f32 v6, -v3, v4, 1.0
	s_sub_i32 s2, s15, s3
	s_mul_i32 s0, s0, s40
	s_mul_i32 s1, s1, s9
	s_waitcnt lgkmcnt(0)
	s_mul_i32 s3, s2, s23
	v_fmac_f32_e32 v4, v6, v4
	v_div_scale_f32 v7, vcc_lo, v1, v2, v1
	s_mul_hi_u32 s9, s2, s22
	s_add_i32 s0, s0, s13
	s_sub_i32 s7, s13, s1
	s_delay_alu instid0(VALU_DEP_1)
	v_mul_f32_e32 v6, v7, v4
	s_mul_i32 s2, s2, s22
	s_add_i32 s3, s9, s3
	s_mul_i32 s0, s0, s12
	s_mul_i32 s10, s8, s21
	v_fma_f32 v8, -v3, v6, v7
	s_mul_hi_u32 s11, s8, s20
	s_mul_i32 s13, s7, s19
	s_mul_hi_u32 s14, s7, s18
	s_lshl_b64 s[2:3], s[2:3], 2
	v_fmac_f32_e32 v6, v8, v4
	s_ashr_i32 s1, s0, 31
	s_mul_i32 s8, s8, s20
	s_add_i32 s9, s11, s10
	s_add_i32 s11, s14, s13
	v_fma_f32 v3, -v3, v6, v7
	s_add_u32 s13, s16, s2
	s_addc_u32 s14, s17, s3
	s_lshl_b64 s[2:3], s[8:9], 2
	s_mul_i32 s10, s7, s18
	v_div_fmas_f32 v3, v3, v4, v6
	s_add_u32 s7, s13, s2
	s_addc_u32 s8, s14, s3
	s_lshl_b64 s[2:3], s[10:11], 2
	s_delay_alu instid0(VALU_DEP_1) | instskip(SKIP_3) | instid1(VALU_DEP_1)
	v_div_fixup_f32 v1, v3, v2, v1
	s_add_u32 s7, s7, s2
	s_addc_u32 s8, s8, s3
	s_lshl_b64 s[0:1], s[0:1], 2
	v_add_f32_e32 v1, s35, v1
	s_add_u32 s9, s26, s0
	s_addc_u32 s13, s27, s1
	s_add_i32 s0, s49, s48
	s_add_i32 s1, s47, s45
	v_cmp_gt_f32_e32 vcc_lo, 0x800000, v1
	v_mul_f32_e32 v2, 0x4b800000, v1
	s_add_i32 s37, s0, s44
	s_add_i32 s39, s1, s46
	s_lshl_b64 s[2:3], s[36:37], 2
	s_lshl_b64 s[10:11], s[38:39], 2
	v_cndmask_b32_e32 v1, v1, v2, vcc_lo
	s_add_u32 s10, s2, s10
	s_addc_u32 s11, s3, s11
	s_add_i32 s2, s43, s33
	s_mov_b32 s1, 0
	v_rsq_f32_e32 v3, v1
	s_add_i32 s35, s2, s42
	v_add_co_u32 v1, s2, s9, v5
	s_delay_alu instid0(VALU_DEP_1)
	v_add_co_ci_u32_e64 v2, null, s13, 0, s2
	s_lshl_b64 s[2:3], s[34:35], 2
	s_mov_b32 s0, s4
	s_add_u32 s2, s10, s2
	s_addc_u32 s3, s11, s3
	s_waitcnt_depctr 0xfff
	v_mul_f32_e32 v4, 0x45800000, v3
	s_add_u32 s2, s24, s2
	s_addc_u32 s3, s25, s3
	v_add_co_u32 v5, s2, s2, v5
	s_delay_alu instid0(VALU_DEP_2)
	v_cndmask_b32_e32 v7, v3, v4, vcc_lo
	v_mad_u64_u32 v[3:4], null, v0, s4, 0
	v_add_co_ci_u32_e64 v6, null, s3, 0, s2
	s_lshl_b64 s[2:3], s[0:1], 10
	s_sub_i32 s4, 0, s6
	s_set_inst_prefetch_distance 0x1
	.p2align	6
.LBB7_8:                                ; =>This Inner Loop Header: Depth=1
	s_delay_alu instid0(VALU_DEP_2) | instskip(NEXT) | instid1(VALU_DEP_1)
	v_add_nc_u32_e32 v8, v0, v4
	v_lshrrev_b32_e32 v10, s5, v8
	s_delay_alu instid0(VALU_DEP_1) | instskip(SKIP_3) | instid1(VALU_DEP_1)
	v_mad_u64_u32 v[8:9], null, s4, v10, v[0:1]
	global_load_b32 v10, v[5:6], off
	v_add_nc_u32_e32 v0, 0x400, v0
	v_ashrrev_i32_e32 v9, 31, v8
	v_lshlrev_b64 v[8:9], 2, v[8:9]
	s_delay_alu instid0(VALU_DEP_1) | instskip(NEXT) | instid1(VALU_DEP_2)
	v_add_co_u32 v8, vcc_lo, s7, v8
	v_add_co_ci_u32_e32 v9, vcc_lo, s8, v9, vcc_lo
	v_add_co_u32 v5, vcc_lo, 0x1000, v5
	v_add_co_ci_u32_e32 v6, vcc_lo, 0, v6, vcc_lo
	global_load_b32 v8, v[8:9], off
	v_add_co_u32 v3, vcc_lo, v3, s2
	v_add_co_ci_u32_e32 v4, vcc_lo, s3, v4, vcc_lo
	v_cmp_le_i32_e32 vcc_lo, s12, v0
	s_or_b32 s1, vcc_lo, s1
	s_waitcnt vmcnt(1)
	v_mul_f32_e32 v9, v7, v10
	s_waitcnt vmcnt(0)
	s_delay_alu instid0(VALU_DEP_1) | instskip(SKIP_2) | instid1(VALU_DEP_1)
	v_mul_f32_e32 v8, v9, v8
	global_store_b32 v[1:2], v8, off
	v_add_co_u32 v1, s0, 0x1000, v1
	v_add_co_ci_u32_e64 v2, s0, 0, v2, s0
	s_and_not1_b32 exec_lo, exec_lo, s1
	s_cbranch_execnz .LBB7_8
.LBB7_9:
	s_set_inst_prefetch_distance 0x2
	s_nop 0
	s_sendmsg sendmsg(MSG_DEALLOC_VGPRS)
	s_endpgm
	.section	.rodata,"a",@progbits
	.p2align	6, 0x0
	.amdhsa_kernel _ZL12rms_norm_f32ILi1024ELb1ELb0EEvPKfPfilllfS1_lll15HIP_vector_typeIjLj3EES4_S4_S4_S1_lllS4_S4_S4_S4_
		.amdhsa_group_segment_fixed_size 0
		.amdhsa_private_segment_fixed_size 0
		.amdhsa_kernarg_size 472
		.amdhsa_user_sgpr_count 13
		.amdhsa_user_sgpr_dispatch_ptr 0
		.amdhsa_user_sgpr_queue_ptr 0
		.amdhsa_user_sgpr_kernarg_segment_ptr 1
		.amdhsa_user_sgpr_dispatch_id 0
		.amdhsa_user_sgpr_private_segment_size 0
		.amdhsa_wavefront_size32 1
		.amdhsa_uses_dynamic_stack 0
		.amdhsa_enable_private_segment 0
		.amdhsa_system_sgpr_workgroup_id_x 1
		.amdhsa_system_sgpr_workgroup_id_y 1
		.amdhsa_system_sgpr_workgroup_id_z 1
		.amdhsa_system_sgpr_workgroup_info 0
		.amdhsa_system_vgpr_workitem_id 0
		.amdhsa_next_free_vgpr 11
		.amdhsa_next_free_sgpr 50
		.amdhsa_reserve_vcc 1
		.amdhsa_float_round_mode_32 0
		.amdhsa_float_round_mode_16_64 0
		.amdhsa_float_denorm_mode_32 3
		.amdhsa_float_denorm_mode_16_64 3
		.amdhsa_dx10_clamp 1
		.amdhsa_ieee_mode 1
		.amdhsa_fp16_overflow 0
		.amdhsa_workgroup_processor_mode 1
		.amdhsa_memory_ordered 1
		.amdhsa_forward_progress 0
		.amdhsa_shared_vgpr_count 0
		.amdhsa_exception_fp_ieee_invalid_op 0
		.amdhsa_exception_fp_denorm_src 0
		.amdhsa_exception_fp_ieee_div_zero 0
		.amdhsa_exception_fp_ieee_overflow 0
		.amdhsa_exception_fp_ieee_underflow 0
		.amdhsa_exception_fp_ieee_inexact 0
		.amdhsa_exception_int_div_zero 0
	.end_amdhsa_kernel
	.section	.text._ZL12rms_norm_f32ILi1024ELb1ELb0EEvPKfPfilllfS1_lll15HIP_vector_typeIjLj3EES4_S4_S4_S1_lllS4_S4_S4_S4_,"axG",@progbits,_ZL12rms_norm_f32ILi1024ELb1ELb0EEvPKfPfilllfS1_lll15HIP_vector_typeIjLj3EES4_S4_S4_S1_lllS4_S4_S4_S4_,comdat
.Lfunc_end7:
	.size	_ZL12rms_norm_f32ILi1024ELb1ELb0EEvPKfPfilllfS1_lll15HIP_vector_typeIjLj3EES4_S4_S4_S1_lllS4_S4_S4_S4_, .Lfunc_end7-_ZL12rms_norm_f32ILi1024ELb1ELb0EEvPKfPfilllfS1_lll15HIP_vector_typeIjLj3EES4_S4_S4_S1_lllS4_S4_S4_S4_
                                        ; -- End function
	.section	.AMDGPU.csdata,"",@progbits
; Kernel info:
; codeLenInByte = 1372
; NumSgprs: 52
; NumVgprs: 11
; ScratchSize: 0
; MemoryBound: 0
; FloatMode: 240
; IeeeMode: 1
; LDSByteSize: 0 bytes/workgroup (compile time only)
; SGPRBlocks: 6
; VGPRBlocks: 1
; NumSGPRsForWavesPerEU: 52
; NumVGPRsForWavesPerEU: 11
; Occupancy: 16
; WaveLimiterHint : 0
; COMPUTE_PGM_RSRC2:SCRATCH_EN: 0
; COMPUTE_PGM_RSRC2:USER_SGPR: 13
; COMPUTE_PGM_RSRC2:TRAP_HANDLER: 0
; COMPUTE_PGM_RSRC2:TGID_X_EN: 1
; COMPUTE_PGM_RSRC2:TGID_Y_EN: 1
; COMPUTE_PGM_RSRC2:TGID_Z_EN: 1
; COMPUTE_PGM_RSRC2:TIDIG_COMP_CNT: 0
	.section	.text._ZL12rms_norm_f32ILi256ELb1ELb1EEvPKfPfilllfS1_lll15HIP_vector_typeIjLj3EES4_S4_S4_S1_lllS4_S4_S4_S4_,"axG",@progbits,_ZL12rms_norm_f32ILi256ELb1ELb1EEvPKfPfilllfS1_lll15HIP_vector_typeIjLj3EES4_S4_S4_S1_lllS4_S4_S4_S4_,comdat
	.globl	_ZL12rms_norm_f32ILi256ELb1ELb1EEvPKfPfilllfS1_lll15HIP_vector_typeIjLj3EES4_S4_S4_S1_lllS4_S4_S4_S4_ ; -- Begin function _ZL12rms_norm_f32ILi256ELb1ELb1EEvPKfPfilllfS1_lll15HIP_vector_typeIjLj3EES4_S4_S4_S1_lllS4_S4_S4_S4_
	.p2align	8
	.type	_ZL12rms_norm_f32ILi256ELb1ELb1EEvPKfPfilllfS1_lll15HIP_vector_typeIjLj3EES4_S4_S4_S1_lllS4_S4_S4_S4_,@function
_ZL12rms_norm_f32ILi256ELb1ELb1EEvPKfPfilllfS1_lll15HIP_vector_typeIjLj3EES4_S4_S4_S1_lllS4_S4_S4_S4_: ; @_ZL12rms_norm_f32ILi256ELb1ELb1EEvPKfPfilllfS1_lll15HIP_vector_typeIjLj3EES4_S4_S4_S1_lllS4_S4_S4_S4_
; %bb.0:
	s_clause 0x8
	s_load_b32 s12, s[0:1], 0x10
	s_load_b64 s[2:3], s[0:1], 0x28
	s_load_b128 s[24:27], s[0:1], 0x18
	s_load_b128 s[44:47], s[0:1], 0x0
	;; [unrolled: 1-line block ×3, first 2 shown]
	s_load_b256 s[4:11], s[0:1], 0x58
	s_load_b256 s[16:23], s[0:1], 0xa8
	s_load_b128 s[48:51], s[0:1], 0xc8
	s_load_b64 s[60:61], s[0:1], 0xd8
	v_mov_b32_e32 v3, 0
	v_lshlrev_b32_e32 v7, 2, v0
	s_ashr_i32 s28, s15, 31
	s_ashr_i32 s29, s14, 31
	;; [unrolled: 1-line block ×3, first 2 shown]
	s_waitcnt lgkmcnt(0)
	v_cmp_gt_i32_e32 vcc_lo, s12, v0
	s_mul_i32 s67, s2, s28
	s_mul_hi_u32 s69, s2, s15
	s_mul_i32 s62, s3, s15
	s_mul_i32 s56, s2, s15
	s_mul_i32 s65, s26, s29
	s_mul_hi_u32 s68, s26, s14
	s_mul_i32 s66, s27, s14
	s_mul_i32 s58, s26, s14
	;; [unrolled: 4-line block ×3, first 2 shown]
	s_and_saveexec_b32 s24, vcc_lo
	s_cbranch_execz .LBB8_4
; %bb.1:
	s_add_i32 s2, s69, s67
	s_add_i32 s3, s68, s65
	;; [unrolled: 1-line block ×4, first 2 shown]
	s_lshl_b64 s[2:3], s[56:57], 2
	s_lshl_b64 s[26:27], s[58:59], 2
	v_dual_mov_b32 v3, 0 :: v_dual_mov_b32 v4, v0
	s_add_u32 s25, s2, s26
	s_addc_u32 s26, s3, s27
	s_add_i32 s2, s64, s33
	s_delay_alu instid0(SALU_CYCLE_1) | instskip(NEXT) | instid1(SALU_CYCLE_1)
	s_add_i32 s35, s2, s63
	s_lshl_b64 s[2:3], s[34:35], 2
	s_delay_alu instid0(SALU_CYCLE_1) | instskip(SKIP_4) | instid1(VALU_DEP_1)
	s_add_u32 s2, s25, s2
	s_addc_u32 s3, s26, s3
	s_add_u32 s2, s44, s2
	s_addc_u32 s3, s45, s3
	v_add_co_u32 v1, s2, s2, v7
	v_add_co_ci_u32_e64 v2, null, s3, 0, s2
	s_mov_b32 s25, 0
.LBB8_2:                                ; =>This Inner Loop Header: Depth=1
	global_load_b32 v5, v[1:2], off
	v_add_nc_u32_e32 v4, 0x100, v4
	v_add_co_u32 v1, s2, 0x400, v1
	s_delay_alu instid0(VALU_DEP_1) | instskip(SKIP_3) | instid1(VALU_DEP_1)
	v_add_co_ci_u32_e64 v2, s2, 0, v2, s2
	s_waitcnt vmcnt(0)
	v_fmac_f32_e32 v3, v5, v5
	v_cmp_le_i32_e64 s3, s12, v4
	s_or_b32 s25, s3, s25
	s_delay_alu instid0(SALU_CYCLE_1)
	s_and_not1_b32 exec_lo, exec_lo, s25
	s_cbranch_execnz .LBB8_2
; %bb.3:
	s_or_b32 exec_lo, exec_lo, s25
.LBB8_4:
	s_delay_alu instid0(SALU_CYCLE_1) | instskip(SKIP_2) | instid1(VALU_DEP_1)
	s_or_b32 exec_lo, exec_lo, s24
	v_mbcnt_lo_u32_b32 v5, -1, 0
	s_mov_b32 s3, exec_lo
	v_xor_b32_e32 v1, 16, v5
	v_xor_b32_e32 v2, 8, v5
	;; [unrolled: 1-line block ×3, first 2 shown]
	s_delay_alu instid0(VALU_DEP_3) | instskip(NEXT) | instid1(VALU_DEP_1)
	v_cmp_gt_i32_e64 s2, 32, v1
	v_cndmask_b32_e64 v1, v5, v1, s2
	s_delay_alu instid0(VALU_DEP_4) | instskip(NEXT) | instid1(VALU_DEP_2)
	v_cmp_gt_i32_e64 s2, 32, v2
	v_lshlrev_b32_e32 v1, 2, v1
	s_delay_alu instid0(VALU_DEP_2)
	v_cndmask_b32_e64 v2, v5, v2, s2
	ds_bpermute_b32 v4, v1, v3
	v_lshlrev_b32_e32 v2, 2, v2
	s_waitcnt lgkmcnt(0)
	v_add_f32_e32 v4, v3, v4
	v_xor_b32_e32 v3, 4, v5
	ds_bpermute_b32 v6, v2, v4
	v_cmp_gt_i32_e64 s2, 32, v3
	s_delay_alu instid0(VALU_DEP_1) | instskip(SKIP_1) | instid1(VALU_DEP_1)
	v_cndmask_b32_e64 v3, v5, v3, s2
	s_waitcnt lgkmcnt(0)
	v_dual_add_f32 v6, v4, v6 :: v_dual_lshlrev_b32 v3, 2, v3
	v_xor_b32_e32 v4, 2, v5
	ds_bpermute_b32 v8, v3, v6
	v_cmp_gt_i32_e64 s2, 32, v4
	s_delay_alu instid0(VALU_DEP_1) | instskip(SKIP_1) | instid1(VALU_DEP_2)
	v_cndmask_b32_e64 v4, v5, v4, s2
	v_cmp_gt_i32_e64 s2, 32, v9
	v_lshlrev_b32_e32 v4, 2, v4
	s_delay_alu instid0(VALU_DEP_2) | instskip(SKIP_1) | instid1(VALU_DEP_1)
	v_cndmask_b32_e64 v5, v5, v9, s2
	s_waitcnt lgkmcnt(0)
	v_dual_add_f32 v6, v6, v8 :: v_dual_lshlrev_b32 v5, 2, v5
	ds_bpermute_b32 v8, v4, v6
	s_waitcnt lgkmcnt(0)
	v_add_f32_e32 v8, v6, v8
	v_and_b32_e32 v6, 31, v0
	ds_bpermute_b32 v9, v5, v8
	v_cmpx_eq_u32_e32 0, v6
	s_cbranch_execz .LBB8_6
; %bb.5:
	v_lshrrev_b32_e32 v10, 3, v0
	s_waitcnt lgkmcnt(0)
	s_delay_alu instid0(VALU_DEP_1)
	v_dual_add_f32 v8, v8, v9 :: v_dual_add_nc_u32 v9, 0, v10
	ds_store_b32 v9, v8
.LBB8_6:
	s_or_b32 exec_lo, exec_lo, s3
	v_mov_b32_e32 v8, 0
	s_mov_b32 s3, exec_lo
	s_waitcnt lgkmcnt(0)
	s_barrier
	buffer_gl0_inv
	v_cmpx_gt_u32_e32 8, v6
	s_cbranch_execz .LBB8_8
; %bb.7:
	v_lshl_add_u32 v6, v6, 2, 0
	ds_load_b32 v8, v6
.LBB8_8:
	s_or_b32 exec_lo, exec_lo, s3
	s_waitcnt lgkmcnt(0)
	ds_bpermute_b32 v1, v1, v8
	s_waitcnt lgkmcnt(0)
	v_add_f32_e32 v1, v8, v1
	ds_bpermute_b32 v2, v2, v1
	s_waitcnt lgkmcnt(0)
	v_add_f32_e32 v1, v1, v2
	;; [unrolled: 3-line block ×4, first 2 shown]
	ds_bpermute_b32 v2, v5, v1
	s_and_saveexec_b32 s2, vcc_lo
	s_cbranch_execz .LBB8_11
; %bb.9:
	s_waitcnt lgkmcnt(0)
	v_add_f32_e32 v1, v1, v2
	v_cvt_f32_i32_e32 v2, s12
	s_clause 0x1
	s_load_b32 s35, s[0:1], 0x30
	s_load_b256 s[36:43], s[0:1], 0x38
	s_mul_hi_u32 s2, s10, s14
	s_mul_hi_u32 s3, s53, s15
	s_add_i32 s2, s14, s2
	v_div_scale_f32 v3, null, v2, v2, v1
	s_add_i32 s3, s15, s3
	s_load_b256 s[24:31], s[0:1], 0x88
	s_mul_hi_u32 s1, s7, s13
	s_delay_alu instid0(VALU_DEP_1)
	v_rcp_f32_e32 v4, v3
	s_lshr_b32 s2, s2, s11
	s_lshr_b32 s3, s3, s54
	s_mul_i32 s0, s61, s15
	s_add_i32 s1, s13, s1
	v_div_scale_f32 v6, vcc_lo, v1, v2, v1
	s_mul_i32 s2, s2, s52
	s_mul_i32 s3, s3, s55
	s_add_i32 s0, s0, s14
	s_waitcnt_depctr 0xfff
	v_fma_f32 v5, -v3, v4, 1.0
	s_lshr_b32 s1, s1, s8
	s_sub_i32 s8, s14, s2
	s_sub_i32 s2, s15, s3
	s_mul_i32 s0, s0, s60
	v_fmac_f32_e32 v4, v5, v4
	s_mul_i32 s1, s1, s9
	s_waitcnt lgkmcnt(0)
	s_mul_i32 s3, s2, s43
	s_mul_hi_u32 s9, s2, s42
	s_add_i32 s0, s0, s13
	s_sub_i32 s7, s13, s1
	v_mul_f32_e32 v5, v6, v4
	s_mul_i32 s10, s8, s41
	s_mul_hi_u32 s11, s8, s40
	s_mul_i32 s2, s2, s42
	s_add_i32 s3, s9, s3
	s_mul_i32 s0, s0, s12
	s_mul_i32 s39, s7, s39
	s_add_i32 s9, s11, s10
	s_mul_hi_u32 s10, s7, s38
	s_lshl_b64 s[2:3], s[2:3], 2
	s_ashr_i32 s1, s0, 31
	s_mul_i32 s8, s8, s40
	s_add_i32 s11, s10, s39
	v_fma_f32 v8, -v3, v5, v6
	s_add_u32 s36, s36, s2
	s_addc_u32 s37, s37, s3
	s_lshl_b64 s[2:3], s[8:9], 2
	s_mul_i32 s10, s7, s38
	s_add_u32 s7, s36, s2
	s_addc_u32 s8, s37, s3
	s_lshl_b64 s[2:3], s[10:11], 2
	v_fmac_f32_e32 v5, v8, v4
	s_mul_hi_u32 s9, s49, s15
	s_add_u32 s7, s7, s2
	s_mul_hi_u32 s19, s19, s13
	s_addc_u32 s10, s8, s3
	s_add_i32 s8, s15, s9
	s_mul_hi_u32 s22, s22, s14
	s_add_i32 s2, s13, s19
	s_lshr_b32 s8, s8, s50
	v_fma_f32 v3, -v3, v5, v6
	s_add_i32 s3, s14, s22
	s_lshr_b32 s2, s2, s20
	s_mul_i32 s8, s8, s51
	s_lshr_b32 s3, s3, s23
	s_mul_i32 s2, s2, s21
	s_sub_i32 s8, s15, s8
	v_div_fmas_f32 v3, v3, v4, v5
	s_mul_i32 s3, s3, s48
	s_sub_i32 s11, s13, s2
	s_mul_i32 s2, s8, s31
	s_mul_hi_u32 s9, s8, s30
	s_ashr_i32 s13, s8, 31
	s_add_i32 s2, s9, s2
	s_mul_i32 s13, s13, s30
	s_sub_i32 s14, s14, s3
	s_add_i32 s3, s2, s13
	s_mul_i32 s2, s14, s29
	s_mul_hi_u32 s9, s14, s28
	s_ashr_i32 s13, s14, 31
	v_div_fixup_f32 v1, v3, v2, v1
	s_add_i32 s9, s9, s2
	s_mul_i32 s13, s13, s28
	s_mul_i32 s2, s8, s30
	s_add_i32 s9, s9, s13
	s_mul_i32 s8, s14, s28
	s_mul_i32 s13, s11, s27
	s_mul_hi_u32 s14, s11, s26
	s_ashr_i32 s15, s11, 31
	v_add_f32_e32 v1, s35, v1
	s_add_i32 s13, s14, s13
	s_mul_i32 s15, s15, s26
	s_lshl_b64 s[2:3], s[2:3], 2
	s_add_i32 s15, s13, s15
	s_add_u32 s13, s24, s2
	s_addc_u32 s19, s25, s3
	s_lshl_b64 s[2:3], s[8:9], 2
	v_mul_f32_e32 v2, 0x4b800000, v1
	v_cmp_gt_f32_e32 vcc_lo, 0x800000, v1
	s_mul_i32 s14, s11, s26
	s_add_u32 s8, s13, s2
	s_addc_u32 s9, s19, s3
	s_lshl_b64 s[2:3], s[14:15], 2
	v_cndmask_b32_e32 v1, v1, v2, vcc_lo
	s_add_u32 s11, s8, s2
	s_addc_u32 s13, s9, s3
	s_lshl_b64 s[2:3], s[0:1], 2
	v_mad_u64_u32 v[3:4], null, v0, s16, 0
	s_add_u32 s14, s46, s2
	s_addc_u32 s15, s47, s3
	s_add_i32 s0, s69, s67
	s_add_i32 s2, s68, s65
	v_rsq_f32_e32 v1, v1
	s_add_i32 s57, s0, s62
	s_add_i32 s59, s2, s66
	s_lshl_b64 s[2:3], s[56:57], 2
	s_lshl_b64 s[8:9], s[58:59], 2
	v_mad_u64_u32 v[5:6], null, v0, s4, 0
	s_add_u32 s19, s2, s8
	s_addc_u32 s20, s3, s9
	s_add_i32 s3, s64, s33
	s_waitcnt_depctr 0xfff
	v_mul_f32_e32 v2, 0x45800000, v1
	s_add_i32 s35, s3, s63
	s_mov_b32 s0, s4
	s_lshl_b64 s[8:9], s[34:35], 2
	s_mov_b32 s1, 0
	s_add_u32 s8, s19, s8
	s_addc_u32 s9, s20, s9
	s_add_u32 s8, s44, s8
	v_cndmask_b32_e32 v9, v1, v2, vcc_lo
	v_add_co_u32 v1, s14, s14, v7
	s_addc_u32 s9, s45, s9
	v_add_co_u32 v7, s4, s8, v7
	v_add_co_ci_u32_e64 v2, null, s15, 0, s14
	v_add_co_ci_u32_e64 v8, null, s9, 0, s4
	s_mov_b32 s2, s16
	s_mov_b32 s3, s1
	s_lshl_b64 s[8:9], s[0:1], 8
	s_lshl_b64 s[2:3], s[2:3], 8
	s_sub_i32 s4, 0, s6
	s_sub_i32 s6, 0, s18
.LBB8_10:                               ; =>This Inner Loop Header: Depth=1
	v_add_nc_u32_e32 v10, v0, v6
	global_load_b32 v14, v[7:8], off
	v_add_nc_u32_e32 v11, v0, v4
	v_lshrrev_b32_e32 v12, s5, v10
	s_delay_alu instid0(VALU_DEP_2) | instskip(NEXT) | instid1(VALU_DEP_2)
	v_lshrrev_b32_e32 v15, s17, v11
	v_mad_u64_u32 v[10:11], null, s4, v12, v[0:1]
	s_delay_alu instid0(VALU_DEP_2) | instskip(NEXT) | instid1(VALU_DEP_2)
	v_mad_u64_u32 v[12:13], null, s6, v15, v[0:1]
	v_ashrrev_i32_e32 v11, 31, v10
	s_delay_alu instid0(VALU_DEP_2) | instskip(NEXT) | instid1(VALU_DEP_2)
	v_ashrrev_i32_e32 v13, 31, v12
	v_lshlrev_b64 v[10:11], 2, v[10:11]
	s_delay_alu instid0(VALU_DEP_2) | instskip(NEXT) | instid1(VALU_DEP_2)
	v_lshlrev_b64 v[12:13], 2, v[12:13]
	v_add_co_u32 v10, vcc_lo, s7, v10
	s_delay_alu instid0(VALU_DEP_3) | instskip(NEXT) | instid1(VALU_DEP_3)
	v_add_co_ci_u32_e32 v11, vcc_lo, s10, v11, vcc_lo
	v_add_co_u32 v12, vcc_lo, s11, v12
	s_delay_alu instid0(VALU_DEP_4)
	v_add_co_ci_u32_e32 v13, vcc_lo, s13, v13, vcc_lo
	v_add_co_u32 v7, vcc_lo, 0x400, v7
	global_load_b32 v10, v[10:11], off
	global_load_b32 v11, v[12:13], off
	v_add_co_ci_u32_e32 v8, vcc_lo, 0, v8, vcc_lo
	v_add_co_u32 v3, vcc_lo, v3, s2
	v_add_co_ci_u32_e32 v4, vcc_lo, s3, v4, vcc_lo
	v_add_co_u32 v5, vcc_lo, v5, s8
	v_add_co_ci_u32_e32 v6, vcc_lo, s9, v6, vcc_lo
	s_waitcnt vmcnt(2)
	v_mul_f32_e32 v12, v9, v14
	s_waitcnt vmcnt(0)
	s_delay_alu instid0(VALU_DEP_1) | instskip(NEXT) | instid1(VALU_DEP_1)
	v_dual_fmac_f32 v11, v12, v10 :: v_dual_add_nc_u32 v0, 0x100, v0
	v_cmp_le_i32_e32 vcc_lo, s12, v0
	global_store_b32 v[1:2], v11, off
	v_add_co_u32 v1, s0, 0x400, v1
	s_delay_alu instid0(VALU_DEP_1) | instskip(SKIP_1) | instid1(SALU_CYCLE_1)
	v_add_co_ci_u32_e64 v2, s0, 0, v2, s0
	s_or_b32 s1, vcc_lo, s1
	s_and_not1_b32 exec_lo, exec_lo, s1
	s_cbranch_execnz .LBB8_10
.LBB8_11:
	s_nop 0
	s_sendmsg sendmsg(MSG_DEALLOC_VGPRS)
	s_endpgm
	.section	.rodata,"a",@progbits
	.p2align	6, 0x0
	.amdhsa_kernel _ZL12rms_norm_f32ILi256ELb1ELb1EEvPKfPfilllfS1_lll15HIP_vector_typeIjLj3EES4_S4_S4_S1_lllS4_S4_S4_S4_
		.amdhsa_group_segment_fixed_size 0
		.amdhsa_private_segment_fixed_size 0
		.amdhsa_kernarg_size 472
		.amdhsa_user_sgpr_count 13
		.amdhsa_user_sgpr_dispatch_ptr 0
		.amdhsa_user_sgpr_queue_ptr 0
		.amdhsa_user_sgpr_kernarg_segment_ptr 1
		.amdhsa_user_sgpr_dispatch_id 0
		.amdhsa_user_sgpr_private_segment_size 0
		.amdhsa_wavefront_size32 1
		.amdhsa_uses_dynamic_stack 0
		.amdhsa_enable_private_segment 0
		.amdhsa_system_sgpr_workgroup_id_x 1
		.amdhsa_system_sgpr_workgroup_id_y 1
		.amdhsa_system_sgpr_workgroup_id_z 1
		.amdhsa_system_sgpr_workgroup_info 0
		.amdhsa_system_vgpr_workitem_id 0
		.amdhsa_next_free_vgpr 16
		.amdhsa_next_free_sgpr 70
		.amdhsa_reserve_vcc 1
		.amdhsa_float_round_mode_32 0
		.amdhsa_float_round_mode_16_64 0
		.amdhsa_float_denorm_mode_32 3
		.amdhsa_float_denorm_mode_16_64 3
		.amdhsa_dx10_clamp 1
		.amdhsa_ieee_mode 1
		.amdhsa_fp16_overflow 0
		.amdhsa_workgroup_processor_mode 1
		.amdhsa_memory_ordered 1
		.amdhsa_forward_progress 0
		.amdhsa_shared_vgpr_count 0
		.amdhsa_exception_fp_ieee_invalid_op 0
		.amdhsa_exception_fp_denorm_src 0
		.amdhsa_exception_fp_ieee_div_zero 0
		.amdhsa_exception_fp_ieee_overflow 0
		.amdhsa_exception_fp_ieee_underflow 0
		.amdhsa_exception_fp_ieee_inexact 0
		.amdhsa_exception_int_div_zero 0
	.end_amdhsa_kernel
	.section	.text._ZL12rms_norm_f32ILi256ELb1ELb1EEvPKfPfilllfS1_lll15HIP_vector_typeIjLj3EES4_S4_S4_S1_lllS4_S4_S4_S4_,"axG",@progbits,_ZL12rms_norm_f32ILi256ELb1ELb1EEvPKfPfilllfS1_lll15HIP_vector_typeIjLj3EES4_S4_S4_S1_lllS4_S4_S4_S4_,comdat
.Lfunc_end8:
	.size	_ZL12rms_norm_f32ILi256ELb1ELb1EEvPKfPfilllfS1_lll15HIP_vector_typeIjLj3EES4_S4_S4_S1_lllS4_S4_S4_S4_, .Lfunc_end8-_ZL12rms_norm_f32ILi256ELb1ELb1EEvPKfPfilllfS1_lll15HIP_vector_typeIjLj3EES4_S4_S4_S1_lllS4_S4_S4_S4_
                                        ; -- End function
	.section	.AMDGPU.csdata,"",@progbits
; Kernel info:
; codeLenInByte = 1672
; NumSgprs: 72
; NumVgprs: 16
; ScratchSize: 0
; MemoryBound: 0
; FloatMode: 240
; IeeeMode: 1
; LDSByteSize: 0 bytes/workgroup (compile time only)
; SGPRBlocks: 8
; VGPRBlocks: 1
; NumSGPRsForWavesPerEU: 72
; NumVGPRsForWavesPerEU: 16
; Occupancy: 16
; WaveLimiterHint : 1
; COMPUTE_PGM_RSRC2:SCRATCH_EN: 0
; COMPUTE_PGM_RSRC2:USER_SGPR: 13
; COMPUTE_PGM_RSRC2:TRAP_HANDLER: 0
; COMPUTE_PGM_RSRC2:TGID_X_EN: 1
; COMPUTE_PGM_RSRC2:TGID_Y_EN: 1
; COMPUTE_PGM_RSRC2:TGID_Z_EN: 1
; COMPUTE_PGM_RSRC2:TIDIG_COMP_CNT: 0
	.section	.text._ZL12rms_norm_f32ILi1024ELb1ELb1EEvPKfPfilllfS1_lll15HIP_vector_typeIjLj3EES4_S4_S4_S1_lllS4_S4_S4_S4_,"axG",@progbits,_ZL12rms_norm_f32ILi1024ELb1ELb1EEvPKfPfilllfS1_lll15HIP_vector_typeIjLj3EES4_S4_S4_S1_lllS4_S4_S4_S4_,comdat
	.globl	_ZL12rms_norm_f32ILi1024ELb1ELb1EEvPKfPfilllfS1_lll15HIP_vector_typeIjLj3EES4_S4_S4_S1_lllS4_S4_S4_S4_ ; -- Begin function _ZL12rms_norm_f32ILi1024ELb1ELb1EEvPKfPfilllfS1_lll15HIP_vector_typeIjLj3EES4_S4_S4_S1_lllS4_S4_S4_S4_
	.p2align	8
	.type	_ZL12rms_norm_f32ILi1024ELb1ELb1EEvPKfPfilllfS1_lll15HIP_vector_typeIjLj3EES4_S4_S4_S1_lllS4_S4_S4_S4_,@function
_ZL12rms_norm_f32ILi1024ELb1ELb1EEvPKfPfilllfS1_lll15HIP_vector_typeIjLj3EES4_S4_S4_S1_lllS4_S4_S4_S4_: ; @_ZL12rms_norm_f32ILi1024ELb1ELb1EEvPKfPfilllfS1_lll15HIP_vector_typeIjLj3EES4_S4_S4_S1_lllS4_S4_S4_S4_
; %bb.0:
	s_clause 0x8
	s_load_b32 s12, s[0:1], 0x10
	s_load_b64 s[2:3], s[0:1], 0x28
	s_load_b128 s[24:27], s[0:1], 0x18
	s_load_b128 s[44:47], s[0:1], 0x0
	;; [unrolled: 1-line block ×3, first 2 shown]
	s_load_b256 s[4:11], s[0:1], 0x58
	s_load_b256 s[16:23], s[0:1], 0xa8
	s_load_b128 s[48:51], s[0:1], 0xc8
	s_load_b64 s[60:61], s[0:1], 0xd8
	v_mov_b32_e32 v3, 0
	v_lshlrev_b32_e32 v7, 2, v0
	s_ashr_i32 s28, s15, 31
	s_ashr_i32 s29, s14, 31
	;; [unrolled: 1-line block ×3, first 2 shown]
	s_waitcnt lgkmcnt(0)
	v_cmp_gt_i32_e32 vcc_lo, s12, v0
	s_mul_i32 s67, s2, s28
	s_mul_hi_u32 s69, s2, s15
	s_mul_i32 s62, s3, s15
	s_mul_i32 s56, s2, s15
	s_mul_i32 s65, s26, s29
	s_mul_hi_u32 s68, s26, s14
	s_mul_i32 s66, s27, s14
	s_mul_i32 s58, s26, s14
	;; [unrolled: 4-line block ×3, first 2 shown]
	s_and_saveexec_b32 s24, vcc_lo
	s_cbranch_execz .LBB9_4
; %bb.1:
	s_add_i32 s2, s69, s67
	s_add_i32 s3, s68, s65
	;; [unrolled: 1-line block ×4, first 2 shown]
	s_lshl_b64 s[2:3], s[56:57], 2
	s_lshl_b64 s[26:27], s[58:59], 2
	v_dual_mov_b32 v3, 0 :: v_dual_mov_b32 v4, v0
	s_add_u32 s25, s2, s26
	s_addc_u32 s26, s3, s27
	s_add_i32 s2, s64, s33
	s_delay_alu instid0(SALU_CYCLE_1) | instskip(NEXT) | instid1(SALU_CYCLE_1)
	s_add_i32 s35, s2, s63
	s_lshl_b64 s[2:3], s[34:35], 2
	s_delay_alu instid0(SALU_CYCLE_1) | instskip(SKIP_4) | instid1(VALU_DEP_1)
	s_add_u32 s2, s25, s2
	s_addc_u32 s3, s26, s3
	s_add_u32 s2, s44, s2
	s_addc_u32 s3, s45, s3
	v_add_co_u32 v1, s2, s2, v7
	v_add_co_ci_u32_e64 v2, null, s3, 0, s2
	s_mov_b32 s25, 0
.LBB9_2:                                ; =>This Inner Loop Header: Depth=1
	global_load_b32 v5, v[1:2], off
	v_add_nc_u32_e32 v4, 0x400, v4
	v_add_co_u32 v1, s2, 0x1000, v1
	s_delay_alu instid0(VALU_DEP_1) | instskip(SKIP_3) | instid1(VALU_DEP_1)
	v_add_co_ci_u32_e64 v2, s2, 0, v2, s2
	s_waitcnt vmcnt(0)
	v_fmac_f32_e32 v3, v5, v5
	v_cmp_le_i32_e64 s3, s12, v4
	s_or_b32 s25, s3, s25
	s_delay_alu instid0(SALU_CYCLE_1)
	s_and_not1_b32 exec_lo, exec_lo, s25
	s_cbranch_execnz .LBB9_2
; %bb.3:
	s_or_b32 exec_lo, exec_lo, s25
.LBB9_4:
	s_delay_alu instid0(SALU_CYCLE_1) | instskip(SKIP_2) | instid1(VALU_DEP_1)
	s_or_b32 exec_lo, exec_lo, s24
	v_mbcnt_lo_u32_b32 v5, -1, 0
	s_mov_b32 s3, exec_lo
	v_xor_b32_e32 v1, 16, v5
	v_xor_b32_e32 v2, 8, v5
	;; [unrolled: 1-line block ×3, first 2 shown]
	s_delay_alu instid0(VALU_DEP_3) | instskip(NEXT) | instid1(VALU_DEP_1)
	v_cmp_gt_i32_e64 s2, 32, v1
	v_cndmask_b32_e64 v1, v5, v1, s2
	s_delay_alu instid0(VALU_DEP_4) | instskip(NEXT) | instid1(VALU_DEP_2)
	v_cmp_gt_i32_e64 s2, 32, v2
	v_lshlrev_b32_e32 v1, 2, v1
	s_delay_alu instid0(VALU_DEP_2)
	v_cndmask_b32_e64 v2, v5, v2, s2
	ds_bpermute_b32 v4, v1, v3
	v_lshlrev_b32_e32 v2, 2, v2
	s_waitcnt lgkmcnt(0)
	v_add_f32_e32 v4, v3, v4
	v_xor_b32_e32 v3, 4, v5
	ds_bpermute_b32 v6, v2, v4
	v_cmp_gt_i32_e64 s2, 32, v3
	s_delay_alu instid0(VALU_DEP_1) | instskip(SKIP_1) | instid1(VALU_DEP_1)
	v_cndmask_b32_e64 v3, v5, v3, s2
	s_waitcnt lgkmcnt(0)
	v_dual_add_f32 v6, v4, v6 :: v_dual_lshlrev_b32 v3, 2, v3
	v_xor_b32_e32 v4, 2, v5
	ds_bpermute_b32 v8, v3, v6
	v_cmp_gt_i32_e64 s2, 32, v4
	s_delay_alu instid0(VALU_DEP_1) | instskip(SKIP_1) | instid1(VALU_DEP_2)
	v_cndmask_b32_e64 v4, v5, v4, s2
	v_cmp_gt_i32_e64 s2, 32, v9
	v_lshlrev_b32_e32 v4, 2, v4
	s_delay_alu instid0(VALU_DEP_2) | instskip(SKIP_1) | instid1(VALU_DEP_1)
	v_cndmask_b32_e64 v5, v5, v9, s2
	s_waitcnt lgkmcnt(0)
	v_dual_add_f32 v6, v6, v8 :: v_dual_lshlrev_b32 v5, 2, v5
	ds_bpermute_b32 v8, v4, v6
	s_waitcnt lgkmcnt(0)
	v_add_f32_e32 v8, v6, v8
	v_and_b32_e32 v6, 31, v0
	ds_bpermute_b32 v9, v5, v8
	v_cmpx_eq_u32_e32 0, v6
	s_cbranch_execz .LBB9_6
; %bb.5:
	v_lshrrev_b32_e32 v10, 3, v0
	s_waitcnt lgkmcnt(0)
	s_delay_alu instid0(VALU_DEP_1)
	v_dual_add_f32 v8, v8, v9 :: v_dual_add_nc_u32 v9, 0, v10
	ds_store_b32 v9, v8
.LBB9_6:
	s_or_b32 exec_lo, exec_lo, s3
	v_lshl_add_u32 v6, v6, 2, 0
	s_waitcnt lgkmcnt(0)
	s_barrier
	buffer_gl0_inv
	ds_load_b32 v6, v6
	s_waitcnt lgkmcnt(0)
	ds_bpermute_b32 v1, v1, v6
	s_waitcnt lgkmcnt(0)
	v_add_f32_e32 v1, v6, v1
	ds_bpermute_b32 v2, v2, v1
	s_waitcnt lgkmcnt(0)
	v_add_f32_e32 v1, v1, v2
	;; [unrolled: 3-line block ×4, first 2 shown]
	ds_bpermute_b32 v2, v5, v1
	s_and_saveexec_b32 s2, vcc_lo
	s_cbranch_execz .LBB9_9
; %bb.7:
	s_waitcnt lgkmcnt(0)
	v_add_f32_e32 v1, v1, v2
	v_cvt_f32_i32_e32 v2, s12
	s_clause 0x1
	s_load_b32 s35, s[0:1], 0x30
	s_load_b256 s[36:43], s[0:1], 0x38
	s_mul_hi_u32 s2, s10, s14
	s_mul_hi_u32 s3, s53, s15
	s_add_i32 s2, s14, s2
	v_div_scale_f32 v3, null, v2, v2, v1
	s_add_i32 s3, s15, s3
	s_load_b256 s[24:31], s[0:1], 0x88
	s_mul_hi_u32 s1, s7, s13
	s_delay_alu instid0(VALU_DEP_1)
	v_rcp_f32_e32 v4, v3
	s_lshr_b32 s2, s2, s11
	s_lshr_b32 s3, s3, s54
	s_mul_i32 s0, s61, s15
	s_add_i32 s1, s13, s1
	v_div_scale_f32 v6, vcc_lo, v1, v2, v1
	s_mul_i32 s2, s2, s52
	s_mul_i32 s3, s3, s55
	s_add_i32 s0, s0, s14
	s_waitcnt_depctr 0xfff
	v_fma_f32 v5, -v3, v4, 1.0
	s_lshr_b32 s1, s1, s8
	s_sub_i32 s8, s14, s2
	s_sub_i32 s2, s15, s3
	s_mul_i32 s0, s0, s60
	v_fmac_f32_e32 v4, v5, v4
	s_mul_i32 s1, s1, s9
	s_waitcnt lgkmcnt(0)
	s_mul_i32 s3, s2, s43
	s_mul_hi_u32 s9, s2, s42
	s_add_i32 s0, s0, s13
	s_sub_i32 s7, s13, s1
	v_mul_f32_e32 v5, v6, v4
	s_mul_i32 s10, s8, s41
	s_mul_hi_u32 s11, s8, s40
	s_mul_i32 s2, s2, s42
	s_add_i32 s3, s9, s3
	s_mul_i32 s0, s0, s12
	s_mul_i32 s39, s7, s39
	s_add_i32 s9, s11, s10
	s_mul_hi_u32 s10, s7, s38
	s_lshl_b64 s[2:3], s[2:3], 2
	s_ashr_i32 s1, s0, 31
	s_mul_i32 s8, s8, s40
	s_add_i32 s11, s10, s39
	v_fma_f32 v8, -v3, v5, v6
	s_add_u32 s36, s36, s2
	s_addc_u32 s37, s37, s3
	s_lshl_b64 s[2:3], s[8:9], 2
	s_mul_i32 s10, s7, s38
	s_add_u32 s7, s36, s2
	s_addc_u32 s8, s37, s3
	s_lshl_b64 s[2:3], s[10:11], 2
	v_fmac_f32_e32 v5, v8, v4
	s_mul_hi_u32 s9, s49, s15
	s_add_u32 s7, s7, s2
	s_mul_hi_u32 s19, s19, s13
	s_addc_u32 s10, s8, s3
	s_add_i32 s8, s15, s9
	s_mul_hi_u32 s22, s22, s14
	s_add_i32 s2, s13, s19
	s_lshr_b32 s8, s8, s50
	v_fma_f32 v3, -v3, v5, v6
	s_add_i32 s3, s14, s22
	s_lshr_b32 s2, s2, s20
	s_mul_i32 s8, s8, s51
	s_lshr_b32 s3, s3, s23
	s_mul_i32 s2, s2, s21
	s_sub_i32 s8, s15, s8
	v_div_fmas_f32 v3, v3, v4, v5
	s_mul_i32 s3, s3, s48
	s_sub_i32 s11, s13, s2
	s_mul_i32 s2, s8, s31
	s_mul_hi_u32 s9, s8, s30
	s_ashr_i32 s13, s8, 31
	s_add_i32 s2, s9, s2
	s_mul_i32 s13, s13, s30
	s_sub_i32 s14, s14, s3
	s_add_i32 s3, s2, s13
	s_mul_i32 s2, s14, s29
	s_mul_hi_u32 s9, s14, s28
	s_ashr_i32 s13, s14, 31
	v_div_fixup_f32 v1, v3, v2, v1
	s_add_i32 s9, s9, s2
	s_mul_i32 s13, s13, s28
	s_mul_i32 s2, s8, s30
	s_add_i32 s9, s9, s13
	s_mul_i32 s8, s14, s28
	s_mul_i32 s13, s11, s27
	s_mul_hi_u32 s14, s11, s26
	s_ashr_i32 s15, s11, 31
	v_add_f32_e32 v1, s35, v1
	s_add_i32 s13, s14, s13
	s_mul_i32 s15, s15, s26
	s_lshl_b64 s[2:3], s[2:3], 2
	s_add_i32 s15, s13, s15
	s_add_u32 s13, s24, s2
	s_addc_u32 s19, s25, s3
	s_lshl_b64 s[2:3], s[8:9], 2
	v_mul_f32_e32 v2, 0x4b800000, v1
	v_cmp_gt_f32_e32 vcc_lo, 0x800000, v1
	s_mul_i32 s14, s11, s26
	s_add_u32 s8, s13, s2
	s_addc_u32 s9, s19, s3
	s_lshl_b64 s[2:3], s[14:15], 2
	v_cndmask_b32_e32 v1, v1, v2, vcc_lo
	s_add_u32 s11, s8, s2
	s_addc_u32 s13, s9, s3
	s_lshl_b64 s[2:3], s[0:1], 2
	v_mad_u64_u32 v[3:4], null, v0, s16, 0
	s_add_u32 s14, s46, s2
	s_addc_u32 s15, s47, s3
	s_add_i32 s0, s69, s67
	s_add_i32 s2, s68, s65
	v_rsq_f32_e32 v1, v1
	s_add_i32 s57, s0, s62
	s_add_i32 s59, s2, s66
	s_lshl_b64 s[2:3], s[56:57], 2
	s_lshl_b64 s[8:9], s[58:59], 2
	v_mad_u64_u32 v[5:6], null, v0, s4, 0
	s_add_u32 s19, s2, s8
	s_addc_u32 s20, s3, s9
	s_add_i32 s3, s64, s33
	s_waitcnt_depctr 0xfff
	v_mul_f32_e32 v2, 0x45800000, v1
	s_add_i32 s35, s3, s63
	s_mov_b32 s0, s4
	s_lshl_b64 s[8:9], s[34:35], 2
	s_mov_b32 s1, 0
	s_add_u32 s8, s19, s8
	s_addc_u32 s9, s20, s9
	s_add_u32 s8, s44, s8
	v_cndmask_b32_e32 v9, v1, v2, vcc_lo
	v_add_co_u32 v1, s14, s14, v7
	s_addc_u32 s9, s45, s9
	v_add_co_u32 v7, s4, s8, v7
	v_add_co_ci_u32_e64 v2, null, s15, 0, s14
	v_add_co_ci_u32_e64 v8, null, s9, 0, s4
	s_mov_b32 s2, s16
	s_mov_b32 s3, s1
	s_lshl_b64 s[8:9], s[0:1], 10
	s_lshl_b64 s[2:3], s[2:3], 10
	s_sub_i32 s4, 0, s6
	s_sub_i32 s6, 0, s18
.LBB9_8:                                ; =>This Inner Loop Header: Depth=1
	v_add_nc_u32_e32 v10, v0, v6
	global_load_b32 v14, v[7:8], off
	v_add_nc_u32_e32 v11, v0, v4
	v_lshrrev_b32_e32 v12, s5, v10
	s_delay_alu instid0(VALU_DEP_2) | instskip(NEXT) | instid1(VALU_DEP_2)
	v_lshrrev_b32_e32 v15, s17, v11
	v_mad_u64_u32 v[10:11], null, s4, v12, v[0:1]
	s_delay_alu instid0(VALU_DEP_2) | instskip(NEXT) | instid1(VALU_DEP_2)
	v_mad_u64_u32 v[12:13], null, s6, v15, v[0:1]
	v_ashrrev_i32_e32 v11, 31, v10
	s_delay_alu instid0(VALU_DEP_2) | instskip(NEXT) | instid1(VALU_DEP_2)
	v_ashrrev_i32_e32 v13, 31, v12
	v_lshlrev_b64 v[10:11], 2, v[10:11]
	s_delay_alu instid0(VALU_DEP_2) | instskip(NEXT) | instid1(VALU_DEP_2)
	v_lshlrev_b64 v[12:13], 2, v[12:13]
	v_add_co_u32 v10, vcc_lo, s7, v10
	s_delay_alu instid0(VALU_DEP_3) | instskip(NEXT) | instid1(VALU_DEP_3)
	v_add_co_ci_u32_e32 v11, vcc_lo, s10, v11, vcc_lo
	v_add_co_u32 v12, vcc_lo, s11, v12
	s_delay_alu instid0(VALU_DEP_4)
	v_add_co_ci_u32_e32 v13, vcc_lo, s13, v13, vcc_lo
	v_add_co_u32 v7, vcc_lo, 0x1000, v7
	global_load_b32 v10, v[10:11], off
	global_load_b32 v11, v[12:13], off
	v_add_co_ci_u32_e32 v8, vcc_lo, 0, v8, vcc_lo
	v_add_co_u32 v3, vcc_lo, v3, s2
	v_add_co_ci_u32_e32 v4, vcc_lo, s3, v4, vcc_lo
	v_add_co_u32 v5, vcc_lo, v5, s8
	v_add_co_ci_u32_e32 v6, vcc_lo, s9, v6, vcc_lo
	s_waitcnt vmcnt(2)
	v_mul_f32_e32 v12, v9, v14
	s_waitcnt vmcnt(0)
	s_delay_alu instid0(VALU_DEP_1) | instskip(NEXT) | instid1(VALU_DEP_1)
	v_dual_fmac_f32 v11, v12, v10 :: v_dual_add_nc_u32 v0, 0x400, v0
	v_cmp_le_i32_e32 vcc_lo, s12, v0
	global_store_b32 v[1:2], v11, off
	v_add_co_u32 v1, s0, 0x1000, v1
	s_delay_alu instid0(VALU_DEP_1) | instskip(SKIP_1) | instid1(SALU_CYCLE_1)
	v_add_co_ci_u32_e64 v2, s0, 0, v2, s0
	s_or_b32 s1, vcc_lo, s1
	s_and_not1_b32 exec_lo, exec_lo, s1
	s_cbranch_execnz .LBB9_8
.LBB9_9:
	s_nop 0
	s_sendmsg sendmsg(MSG_DEALLOC_VGPRS)
	s_endpgm
	.section	.rodata,"a",@progbits
	.p2align	6, 0x0
	.amdhsa_kernel _ZL12rms_norm_f32ILi1024ELb1ELb1EEvPKfPfilllfS1_lll15HIP_vector_typeIjLj3EES4_S4_S4_S1_lllS4_S4_S4_S4_
		.amdhsa_group_segment_fixed_size 0
		.amdhsa_private_segment_fixed_size 0
		.amdhsa_kernarg_size 472
		.amdhsa_user_sgpr_count 13
		.amdhsa_user_sgpr_dispatch_ptr 0
		.amdhsa_user_sgpr_queue_ptr 0
		.amdhsa_user_sgpr_kernarg_segment_ptr 1
		.amdhsa_user_sgpr_dispatch_id 0
		.amdhsa_user_sgpr_private_segment_size 0
		.amdhsa_wavefront_size32 1
		.amdhsa_uses_dynamic_stack 0
		.amdhsa_enable_private_segment 0
		.amdhsa_system_sgpr_workgroup_id_x 1
		.amdhsa_system_sgpr_workgroup_id_y 1
		.amdhsa_system_sgpr_workgroup_id_z 1
		.amdhsa_system_sgpr_workgroup_info 0
		.amdhsa_system_vgpr_workitem_id 0
		.amdhsa_next_free_vgpr 16
		.amdhsa_next_free_sgpr 70
		.amdhsa_reserve_vcc 1
		.amdhsa_float_round_mode_32 0
		.amdhsa_float_round_mode_16_64 0
		.amdhsa_float_denorm_mode_32 3
		.amdhsa_float_denorm_mode_16_64 3
		.amdhsa_dx10_clamp 1
		.amdhsa_ieee_mode 1
		.amdhsa_fp16_overflow 0
		.amdhsa_workgroup_processor_mode 1
		.amdhsa_memory_ordered 1
		.amdhsa_forward_progress 0
		.amdhsa_shared_vgpr_count 0
		.amdhsa_exception_fp_ieee_invalid_op 0
		.amdhsa_exception_fp_denorm_src 0
		.amdhsa_exception_fp_ieee_div_zero 0
		.amdhsa_exception_fp_ieee_overflow 0
		.amdhsa_exception_fp_ieee_underflow 0
		.amdhsa_exception_fp_ieee_inexact 0
		.amdhsa_exception_int_div_zero 0
	.end_amdhsa_kernel
	.section	.text._ZL12rms_norm_f32ILi1024ELb1ELb1EEvPKfPfilllfS1_lll15HIP_vector_typeIjLj3EES4_S4_S4_S1_lllS4_S4_S4_S4_,"axG",@progbits,_ZL12rms_norm_f32ILi1024ELb1ELb1EEvPKfPfilllfS1_lll15HIP_vector_typeIjLj3EES4_S4_S4_S1_lllS4_S4_S4_S4_,comdat
.Lfunc_end9:
	.size	_ZL12rms_norm_f32ILi1024ELb1ELb1EEvPKfPfilllfS1_lll15HIP_vector_typeIjLj3EES4_S4_S4_S1_lllS4_S4_S4_S4_, .Lfunc_end9-_ZL12rms_norm_f32ILi1024ELb1ELb1EEvPKfPfilllfS1_lll15HIP_vector_typeIjLj3EES4_S4_S4_S1_lllS4_S4_S4_S4_
                                        ; -- End function
	.section	.AMDGPU.csdata,"",@progbits
; Kernel info:
; codeLenInByte = 1652
; NumSgprs: 72
; NumVgprs: 16
; ScratchSize: 0
; MemoryBound: 0
; FloatMode: 240
; IeeeMode: 1
; LDSByteSize: 0 bytes/workgroup (compile time only)
; SGPRBlocks: 8
; VGPRBlocks: 1
; NumSGPRsForWavesPerEU: 72
; NumVGPRsForWavesPerEU: 16
; Occupancy: 16
; WaveLimiterHint : 1
; COMPUTE_PGM_RSRC2:SCRATCH_EN: 0
; COMPUTE_PGM_RSRC2:USER_SGPR: 13
; COMPUTE_PGM_RSRC2:TRAP_HANDLER: 0
; COMPUTE_PGM_RSRC2:TGID_X_EN: 1
; COMPUTE_PGM_RSRC2:TGID_Y_EN: 1
; COMPUTE_PGM_RSRC2:TGID_Z_EN: 1
; COMPUTE_PGM_RSRC2:TIDIG_COMP_CNT: 0
	.section	.text._ZL17rms_norm_back_f32ILi32EEvPKfS1_Pfif,"axG",@progbits,_ZL17rms_norm_back_f32ILi32EEvPKfS1_Pfif,comdat
	.globl	_ZL17rms_norm_back_f32ILi32EEvPKfS1_Pfif ; -- Begin function _ZL17rms_norm_back_f32ILi32EEvPKfS1_Pfif
	.p2align	8
	.type	_ZL17rms_norm_back_f32ILi32EEvPKfS1_Pfif,@function
_ZL17rms_norm_back_f32ILi32EEvPKfS1_Pfif: ; @_ZL17rms_norm_back_f32ILi32EEvPKfS1_Pfif
; %bb.0:
	s_clause 0x1
	s_load_b32 s2, s[0:1], 0x2c
	s_load_b256 s[4:11], s[0:1], 0x0
	v_bfe_u32 v2, v0, 10, 10
	v_dual_mov_b32 v7, 0 :: v_dual_and_b32 v6, 0x3ff, v0
	s_delay_alu instid0(VALU_DEP_1)
	v_dual_mov_b32 v8, 0 :: v_dual_lshlrev_b32 v5, 2, v6
	s_waitcnt lgkmcnt(0)
	s_lshr_b32 s0, s2, 16
	v_cmp_gt_i32_e32 vcc_lo, s10, v6
	v_mad_u64_u32 v[0:1], null, s15, s0, v[2:3]
	s_and_saveexec_b32 s2, vcc_lo
	s_cbranch_execz .LBB10_4
; %bb.1:
	s_delay_alu instid0(VALU_DEP_1) | instskip(SKIP_3) | instid1(VALU_DEP_3)
	v_mad_i64_i32 v[1:2], null, s10, v0, 0
	v_dual_mov_b32 v7, 0 :: v_dual_mov_b32 v8, 0
	v_mov_b32_e32 v9, v6
	s_mov_b32 s3, 0
	v_lshlrev_b64 v[1:2], 2, v[1:2]
	s_delay_alu instid0(VALU_DEP_1) | instskip(NEXT) | instid1(VALU_DEP_1)
	v_add_co_u32 v3, s0, v1, v5
	v_add_co_ci_u32_e64 v4, s0, 0, v2, s0
	s_delay_alu instid0(VALU_DEP_2) | instskip(NEXT) | instid1(VALU_DEP_1)
	v_add_co_u32 v1, s0, s6, v3
	v_add_co_ci_u32_e64 v2, s0, s7, v4, s0
	v_add_co_u32 v3, s0, s4, v3
	s_delay_alu instid0(VALU_DEP_1)
	v_add_co_ci_u32_e64 v4, s0, s5, v4, s0
	.p2align	6
.LBB10_2:                               ; =>This Inner Loop Header: Depth=1
	global_load_b32 v10, v[1:2], off
	global_load_b32 v11, v[3:4], off
	v_add_nc_u32_e32 v9, 32, v9
	v_add_co_u32 v1, s0, 0x80, v1
	s_delay_alu instid0(VALU_DEP_1) | instskip(SKIP_1) | instid1(VALU_DEP_1)
	v_add_co_ci_u32_e64 v2, s0, 0, v2, s0
	v_add_co_u32 v3, s0, 0x80, v3
	v_add_co_ci_u32_e64 v4, s0, 0, v4, s0
	s_waitcnt vmcnt(1)
	v_fmac_f32_e32 v7, v10, v10
	s_waitcnt vmcnt(0)
	v_fmac_f32_e32 v8, v10, v11
	v_cmp_le_i32_e64 s1, s10, v9
	s_delay_alu instid0(VALU_DEP_1) | instskip(NEXT) | instid1(SALU_CYCLE_1)
	s_or_b32 s3, s1, s3
	s_and_not1_b32 exec_lo, exec_lo, s3
	s_cbranch_execnz .LBB10_2
; %bb.3:
	s_or_b32 exec_lo, exec_lo, s3
.LBB10_4:
	s_delay_alu instid0(SALU_CYCLE_1) | instskip(SKIP_2) | instid1(VALU_DEP_1)
	s_or_b32 exec_lo, exec_lo, s2
	v_mbcnt_lo_u32_b32 v1, -1, 0
	s_mov_b32 s1, 0
	v_xor_b32_e32 v2, 16, v1
	v_xor_b32_e32 v4, 8, v1
	s_delay_alu instid0(VALU_DEP_2) | instskip(NEXT) | instid1(VALU_DEP_1)
	v_cmp_gt_i32_e64 s0, 32, v2
	v_cndmask_b32_e64 v2, v1, v2, s0
	s_delay_alu instid0(VALU_DEP_3) | instskip(NEXT) | instid1(VALU_DEP_2)
	v_cmp_gt_i32_e64 s0, 32, v4
	v_lshlrev_b32_e32 v2, 2, v2
	s_delay_alu instid0(VALU_DEP_2)
	v_cndmask_b32_e64 v4, v1, v4, s0
	ds_bpermute_b32 v3, v2, v7
	s_waitcnt lgkmcnt(0)
	v_dual_add_f32 v3, v7, v3 :: v_dual_lshlrev_b32 v4, 2, v4
	ds_bpermute_b32 v2, v2, v8
	ds_bpermute_b32 v7, v4, v3
	s_waitcnt lgkmcnt(0)
	v_dual_add_f32 v3, v3, v7 :: v_dual_add_f32 v2, v8, v2
	v_xor_b32_e32 v8, 4, v1
	ds_bpermute_b32 v4, v4, v2
	v_cmp_gt_i32_e64 s0, 32, v8
	s_delay_alu instid0(VALU_DEP_1) | instskip(NEXT) | instid1(VALU_DEP_1)
	v_cndmask_b32_e64 v8, v1, v8, s0
	v_lshlrev_b32_e32 v8, 2, v8
	s_waitcnt lgkmcnt(0)
	v_add_f32_e32 v2, v2, v4
	ds_bpermute_b32 v4, v8, v3
	ds_bpermute_b32 v7, v8, v2
	v_xor_b32_e32 v8, 2, v1
	s_delay_alu instid0(VALU_DEP_1) | instskip(NEXT) | instid1(VALU_DEP_1)
	v_cmp_gt_i32_e64 s0, 32, v8
	v_cndmask_b32_e64 v8, v1, v8, s0
	s_delay_alu instid0(VALU_DEP_1)
	v_lshlrev_b32_e32 v8, 2, v8
	s_waitcnt lgkmcnt(1)
	v_add_f32_e32 v3, v3, v4
	ds_bpermute_b32 v4, v8, v3
	s_waitcnt lgkmcnt(0)
	v_dual_add_f32 v2, v2, v7 :: v_dual_add_f32 v3, v3, v4
	ds_bpermute_b32 v7, v8, v2
	v_xor_b32_e32 v8, 1, v1
	s_delay_alu instid0(VALU_DEP_1) | instskip(NEXT) | instid1(VALU_DEP_1)
	v_cmp_gt_i32_e64 s0, 32, v8
	v_cndmask_b32_e64 v1, v1, v8, s0
	s_waitcnt lgkmcnt(0)
	s_delay_alu instid0(VALU_DEP_1)
	v_dual_add_f32 v1, v2, v7 :: v_dual_lshlrev_b32 v8, 2, v1
	ds_bpermute_b32 v4, v8, v3
	ds_bpermute_b32 v2, v8, v1
	s_and_saveexec_b32 s0, vcc_lo
	s_cbranch_execz .LBB10_7
; %bb.5:
	s_waitcnt lgkmcnt(1)
	v_add_f32_e32 v4, v3, v4
	v_cvt_f32_i32_e32 v3, s10
	s_waitcnt lgkmcnt(0)
	v_add_f32_e32 v1, v1, v2
	s_delay_alu instid0(VALU_DEP_2) | instskip(SKIP_1) | instid1(VALU_DEP_2)
	v_div_scale_f32 v7, null, v3, v3, v4
	v_div_scale_f32 v10, vcc_lo, v4, v3, v4
	v_rcp_f32_e32 v8, v7
	s_waitcnt_depctr 0xfff
	v_fma_f32 v9, -v7, v8, 1.0
	s_delay_alu instid0(VALU_DEP_1) | instskip(NEXT) | instid1(VALU_DEP_1)
	v_fmac_f32_e32 v8, v9, v8
	v_mul_f32_e32 v9, v10, v8
	s_delay_alu instid0(VALU_DEP_1) | instskip(NEXT) | instid1(VALU_DEP_1)
	v_fma_f32 v11, -v7, v9, v10
	v_fmac_f32_e32 v9, v11, v8
	s_delay_alu instid0(VALU_DEP_1) | instskip(NEXT) | instid1(VALU_DEP_1)
	v_fma_f32 v7, -v7, v9, v10
	v_div_fmas_f32 v7, v7, v8, v9
	s_delay_alu instid0(VALU_DEP_1) | instskip(NEXT) | instid1(VALU_DEP_1)
	v_div_fixup_f32 v7, v7, v3, v4
	v_add_f32_e32 v7, s11, v7
	v_fmac_f32_e32 v4, s11, v3
	s_delay_alu instid0(VALU_DEP_2) | instskip(SKIP_1) | instid1(VALU_DEP_2)
	v_mul_f32_e32 v8, 0x4b800000, v7
	v_cmp_gt_f32_e32 vcc_lo, 0x800000, v7
	v_cndmask_b32_e32 v7, v7, v8, vcc_lo
	s_delay_alu instid0(VALU_DEP_1) | instskip(SKIP_2) | instid1(VALU_DEP_1)
	v_rsq_f32_e32 v7, v7
	s_waitcnt_depctr 0xfff
	v_mul_f32_e32 v8, 0x45800000, v7
	v_cndmask_b32_e32 v7, v7, v8, vcc_lo
	s_delay_alu instid0(VALU_DEP_1) | instskip(NEXT) | instid1(VALU_DEP_1)
	v_mul_f32_e64 v8, v1, -v7
	v_div_scale_f32 v3, null, v4, v4, v8
	v_div_scale_f32 v10, vcc_lo, v8, v4, v8
	s_delay_alu instid0(VALU_DEP_2) | instskip(SKIP_2) | instid1(VALU_DEP_1)
	v_rcp_f32_e32 v9, v3
	s_waitcnt_depctr 0xfff
	v_fma_f32 v1, -v3, v9, 1.0
	v_fmac_f32_e32 v9, v1, v9
	v_mad_i64_i32 v[1:2], null, s10, v0, 0
	s_delay_alu instid0(VALU_DEP_2) | instskip(NEXT) | instid1(VALU_DEP_2)
	v_mul_f32_e32 v11, v10, v9
	v_lshlrev_b64 v[0:1], 2, v[1:2]
	s_delay_alu instid0(VALU_DEP_2) | instskip(NEXT) | instid1(VALU_DEP_2)
	v_fma_f32 v12, -v3, v11, v10
	v_add_co_u32 v5, s0, v0, v5
	s_delay_alu instid0(VALU_DEP_2) | instskip(NEXT) | instid1(VALU_DEP_4)
	v_fmac_f32_e32 v11, v12, v9
	v_add_co_ci_u32_e64 v12, s0, 0, v1, s0
	s_delay_alu instid0(VALU_DEP_3) | instskip(NEXT) | instid1(VALU_DEP_3)
	v_add_co_u32 v0, s0, s4, v5
	v_fma_f32 v2, -v3, v11, v10
	s_delay_alu instid0(VALU_DEP_3) | instskip(NEXT) | instid1(VALU_DEP_2)
	v_add_co_ci_u32_e64 v1, s0, s5, v12, s0
	v_div_fmas_f32 v9, v2, v9, v11
	v_add_co_u32 v2, vcc_lo, s6, v5
	v_add_co_ci_u32_e32 v3, vcc_lo, s7, v12, vcc_lo
	s_delay_alu instid0(VALU_DEP_3)
	v_div_fixup_f32 v8, v9, v4, v8
	v_add_co_u32 v4, vcc_lo, s8, v5
	v_add_co_ci_u32_e32 v5, vcc_lo, s9, v12, vcc_lo
	.p2align	6
.LBB10_6:                               ; =>This Inner Loop Header: Depth=1
	global_load_b32 v9, v[2:3], off
	global_load_b32 v10, v[0:1], off
	v_add_nc_u32_e32 v6, 32, v6
	v_add_co_u32 v0, vcc_lo, 0x80, v0
	v_add_co_ci_u32_e32 v1, vcc_lo, 0, v1, vcc_lo
	v_add_co_u32 v2, vcc_lo, 0x80, v2
	v_add_co_ci_u32_e32 v3, vcc_lo, 0, v3, vcc_lo
	s_waitcnt vmcnt(1)
	v_mul_f32_e32 v9, v8, v9
	v_cmp_le_i32_e32 vcc_lo, s10, v6
	s_waitcnt vmcnt(0)
	s_delay_alu instid0(VALU_DEP_2) | instskip(SKIP_3) | instid1(VALU_DEP_1)
	v_fmac_f32_e32 v9, v7, v10
	s_or_b32 s1, vcc_lo, s1
	global_store_b32 v[4:5], v9, off
	v_add_co_u32 v4, s0, 0x80, v4
	v_add_co_ci_u32_e64 v5, s0, 0, v5, s0
	s_and_not1_b32 exec_lo, exec_lo, s1
	s_cbranch_execnz .LBB10_6
.LBB10_7:
	s_nop 0
	s_sendmsg sendmsg(MSG_DEALLOC_VGPRS)
	s_endpgm
	.section	.rodata,"a",@progbits
	.p2align	6, 0x0
	.amdhsa_kernel _ZL17rms_norm_back_f32ILi32EEvPKfS1_Pfif
		.amdhsa_group_segment_fixed_size 0
		.amdhsa_private_segment_fixed_size 0
		.amdhsa_kernarg_size 288
		.amdhsa_user_sgpr_count 15
		.amdhsa_user_sgpr_dispatch_ptr 0
		.amdhsa_user_sgpr_queue_ptr 0
		.amdhsa_user_sgpr_kernarg_segment_ptr 1
		.amdhsa_user_sgpr_dispatch_id 0
		.amdhsa_user_sgpr_private_segment_size 0
		.amdhsa_wavefront_size32 1
		.amdhsa_uses_dynamic_stack 0
		.amdhsa_enable_private_segment 0
		.amdhsa_system_sgpr_workgroup_id_x 1
		.amdhsa_system_sgpr_workgroup_id_y 0
		.amdhsa_system_sgpr_workgroup_id_z 0
		.amdhsa_system_sgpr_workgroup_info 0
		.amdhsa_system_vgpr_workitem_id 1
		.amdhsa_next_free_vgpr 13
		.amdhsa_next_free_sgpr 16
		.amdhsa_reserve_vcc 1
		.amdhsa_float_round_mode_32 0
		.amdhsa_float_round_mode_16_64 0
		.amdhsa_float_denorm_mode_32 3
		.amdhsa_float_denorm_mode_16_64 3
		.amdhsa_dx10_clamp 1
		.amdhsa_ieee_mode 1
		.amdhsa_fp16_overflow 0
		.amdhsa_workgroup_processor_mode 1
		.amdhsa_memory_ordered 1
		.amdhsa_forward_progress 0
		.amdhsa_shared_vgpr_count 0
		.amdhsa_exception_fp_ieee_invalid_op 0
		.amdhsa_exception_fp_denorm_src 0
		.amdhsa_exception_fp_ieee_div_zero 0
		.amdhsa_exception_fp_ieee_overflow 0
		.amdhsa_exception_fp_ieee_underflow 0
		.amdhsa_exception_fp_ieee_inexact 0
		.amdhsa_exception_int_div_zero 0
	.end_amdhsa_kernel
	.section	.text._ZL17rms_norm_back_f32ILi32EEvPKfS1_Pfif,"axG",@progbits,_ZL17rms_norm_back_f32ILi32EEvPKfS1_Pfif,comdat
.Lfunc_end10:
	.size	_ZL17rms_norm_back_f32ILi32EEvPKfS1_Pfif, .Lfunc_end10-_ZL17rms_norm_back_f32ILi32EEvPKfS1_Pfif
                                        ; -- End function
	.section	.AMDGPU.csdata,"",@progbits
; Kernel info:
; codeLenInByte = 1088
; NumSgprs: 18
; NumVgprs: 13
; ScratchSize: 0
; MemoryBound: 0
; FloatMode: 240
; IeeeMode: 1
; LDSByteSize: 0 bytes/workgroup (compile time only)
; SGPRBlocks: 2
; VGPRBlocks: 1
; NumSGPRsForWavesPerEU: 18
; NumVGPRsForWavesPerEU: 13
; Occupancy: 16
; WaveLimiterHint : 0
; COMPUTE_PGM_RSRC2:SCRATCH_EN: 0
; COMPUTE_PGM_RSRC2:USER_SGPR: 15
; COMPUTE_PGM_RSRC2:TRAP_HANDLER: 0
; COMPUTE_PGM_RSRC2:TGID_X_EN: 1
; COMPUTE_PGM_RSRC2:TGID_Y_EN: 0
; COMPUTE_PGM_RSRC2:TGID_Z_EN: 0
; COMPUTE_PGM_RSRC2:TIDIG_COMP_CNT: 1
	.section	.text._ZL17rms_norm_back_f32ILi1024EEvPKfS1_Pfif,"axG",@progbits,_ZL17rms_norm_back_f32ILi1024EEvPKfS1_Pfif,comdat
	.globl	_ZL17rms_norm_back_f32ILi1024EEvPKfS1_Pfif ; -- Begin function _ZL17rms_norm_back_f32ILi1024EEvPKfS1_Pfif
	.p2align	8
	.type	_ZL17rms_norm_back_f32ILi1024EEvPKfS1_Pfif,@function
_ZL17rms_norm_back_f32ILi1024EEvPKfS1_Pfif: ; @_ZL17rms_norm_back_f32ILi1024EEvPKfS1_Pfif
; %bb.0:
	s_clause 0x1
	s_load_b32 s2, s[0:1], 0x2c
	s_load_b256 s[4:11], s[0:1], 0x0
	v_bfe_u32 v2, v0, 10, 10
	v_dual_mov_b32 v7, 0 :: v_dual_and_b32 v6, 0x3ff, v0
	s_delay_alu instid0(VALU_DEP_1)
	v_dual_mov_b32 v8, 0 :: v_dual_lshlrev_b32 v5, 2, v6
	s_waitcnt lgkmcnt(0)
	s_lshr_b32 s0, s2, 16
	v_cmp_gt_i32_e32 vcc_lo, s10, v6
	v_mad_u64_u32 v[0:1], null, s15, s0, v[2:3]
	s_and_saveexec_b32 s2, vcc_lo
	s_cbranch_execz .LBB11_4
; %bb.1:
	s_delay_alu instid0(VALU_DEP_1) | instskip(SKIP_3) | instid1(VALU_DEP_3)
	v_mad_i64_i32 v[1:2], null, s10, v0, 0
	v_dual_mov_b32 v7, 0 :: v_dual_mov_b32 v8, 0
	v_mov_b32_e32 v9, v6
	s_mov_b32 s3, 0
	v_lshlrev_b64 v[1:2], 2, v[1:2]
	s_delay_alu instid0(VALU_DEP_1) | instskip(NEXT) | instid1(VALU_DEP_1)
	v_add_co_u32 v3, s0, v1, v5
	v_add_co_ci_u32_e64 v4, s0, 0, v2, s0
	s_delay_alu instid0(VALU_DEP_2) | instskip(NEXT) | instid1(VALU_DEP_1)
	v_add_co_u32 v1, s0, s6, v3
	v_add_co_ci_u32_e64 v2, s0, s7, v4, s0
	v_add_co_u32 v3, s0, s4, v3
	s_delay_alu instid0(VALU_DEP_1)
	v_add_co_ci_u32_e64 v4, s0, s5, v4, s0
	.p2align	6
.LBB11_2:                               ; =>This Inner Loop Header: Depth=1
	global_load_b32 v10, v[1:2], off
	global_load_b32 v11, v[3:4], off
	v_add_nc_u32_e32 v9, 0x400, v9
	v_add_co_u32 v1, s0, 0x1000, v1
	s_delay_alu instid0(VALU_DEP_1) | instskip(SKIP_1) | instid1(VALU_DEP_1)
	v_add_co_ci_u32_e64 v2, s0, 0, v2, s0
	v_add_co_u32 v3, s0, 0x1000, v3
	v_add_co_ci_u32_e64 v4, s0, 0, v4, s0
	s_waitcnt vmcnt(1)
	v_fmac_f32_e32 v7, v10, v10
	s_waitcnt vmcnt(0)
	v_fmac_f32_e32 v8, v10, v11
	v_cmp_le_i32_e64 s1, s10, v9
	s_delay_alu instid0(VALU_DEP_1) | instskip(NEXT) | instid1(SALU_CYCLE_1)
	s_or_b32 s3, s1, s3
	s_and_not1_b32 exec_lo, exec_lo, s3
	s_cbranch_execnz .LBB11_2
; %bb.3:
	s_or_b32 exec_lo, exec_lo, s3
.LBB11_4:
	s_delay_alu instid0(SALU_CYCLE_1) | instskip(SKIP_2) | instid1(VALU_DEP_1)
	s_or_b32 exec_lo, exec_lo, s2
	v_mbcnt_lo_u32_b32 v9, -1, 0
	s_mov_b32 s1, exec_lo
	v_xor_b32_e32 v1, 16, v9
	v_xor_b32_e32 v2, 8, v9
	s_delay_alu instid0(VALU_DEP_2) | instskip(NEXT) | instid1(VALU_DEP_1)
	v_cmp_gt_i32_e64 s0, 32, v1
	v_cndmask_b32_e64 v1, v9, v1, s0
	s_delay_alu instid0(VALU_DEP_3) | instskip(NEXT) | instid1(VALU_DEP_2)
	v_cmp_gt_i32_e64 s0, 32, v2
	v_lshlrev_b32_e32 v1, 2, v1
	s_delay_alu instid0(VALU_DEP_2)
	v_cndmask_b32_e64 v2, v9, v2, s0
	ds_bpermute_b32 v4, v1, v8
	s_waitcnt lgkmcnt(0)
	v_add_f32_e32 v4, v8, v4
	ds_bpermute_b32 v3, v1, v7
	s_waitcnt lgkmcnt(0)
	v_dual_add_f32 v7, v7, v3 :: v_dual_lshlrev_b32 v2, 2, v2
	ds_bpermute_b32 v10, v2, v4
	v_xor_b32_e32 v3, 4, v9
	ds_bpermute_b32 v8, v2, v7
	v_cmp_gt_i32_e64 s0, 32, v3
	s_delay_alu instid0(VALU_DEP_1) | instskip(NEXT) | instid1(VALU_DEP_1)
	v_cndmask_b32_e64 v3, v9, v3, s0
	v_lshlrev_b32_e32 v3, 2, v3
	s_waitcnt lgkmcnt(0)
	v_dual_add_f32 v7, v7, v8 :: v_dual_add_f32 v8, v4, v10
	v_xor_b32_e32 v4, 2, v9
	ds_bpermute_b32 v11, v3, v8
	v_cmp_gt_i32_e64 s0, 32, v4
	s_delay_alu instid0(VALU_DEP_1)
	v_cndmask_b32_e64 v4, v9, v4, s0
	s_waitcnt lgkmcnt(0)
	v_add_f32_e32 v8, v8, v11
	ds_bpermute_b32 v10, v3, v7
	s_waitcnt lgkmcnt(0)
	v_add_f32_e32 v10, v7, v10
	v_xor_b32_e32 v7, 1, v9
	s_delay_alu instid0(VALU_DEP_1) | instskip(NEXT) | instid1(VALU_DEP_1)
	v_cmp_gt_i32_e64 s0, 32, v7
	v_cndmask_b32_e64 v7, v9, v7, s0
	s_delay_alu instid0(VALU_DEP_1)
	v_lshlrev_b32_e32 v7, 2, v7
	v_lshlrev_b32_e32 v4, 2, v4
	ds_bpermute_b32 v11, v4, v10
	s_waitcnt lgkmcnt(0)
	v_add_f32_e32 v9, v10, v11
	ds_bpermute_b32 v12, v4, v8
	ds_bpermute_b32 v10, v7, v9
	s_waitcnt lgkmcnt(1)
	v_dual_add_f32 v11, v8, v12 :: v_dual_and_b32 v8, 31, v6
	ds_bpermute_b32 v12, v7, v11
	v_cmpx_eq_u32_e32 0, v8
	s_cbranch_execz .LBB11_6
; %bb.5:
	v_lshrrev_b32_e32 v13, 3, v6
	s_waitcnt lgkmcnt(0)
	v_add_f32_e32 v11, v11, v12
	v_add_f32_e32 v9, v9, v10
	ds_store_2addr_b32 v13, v11, v9 offset1:32
.LBB11_6:
	s_or_b32 exec_lo, exec_lo, s1
	v_lshlrev_b32_e32 v8, 2, v8
	s_waitcnt lgkmcnt(0)
	s_barrier
	buffer_gl0_inv
	ds_load_2addr_b32 v[8:9], v8 offset1:32
	s_waitcnt lgkmcnt(0)
	ds_bpermute_b32 v10, v1, v9
	ds_bpermute_b32 v1, v1, v8
	s_waitcnt lgkmcnt(1)
	v_add_f32_e32 v9, v9, v10
	s_waitcnt lgkmcnt(0)
	v_add_f32_e32 v1, v8, v1
	ds_bpermute_b32 v8, v2, v9
	s_waitcnt lgkmcnt(0)
	v_add_f32_e32 v8, v9, v8
	ds_bpermute_b32 v2, v2, v1
	;; [unrolled: 3-line block ×3, first 2 shown]
	ds_bpermute_b32 v3, v3, v1
	s_waitcnt lgkmcnt(0)
	v_dual_add_f32 v2, v8, v2 :: v_dual_add_f32 v1, v1, v3
	ds_bpermute_b32 v3, v4, v2
	ds_bpermute_b32 v4, v4, v1
	s_waitcnt lgkmcnt(1)
	v_add_f32_e32 v3, v2, v3
	s_waitcnt lgkmcnt(0)
	v_add_f32_e32 v1, v1, v4
	ds_bpermute_b32 v4, v7, v3
	ds_bpermute_b32 v2, v7, v1
	s_and_saveexec_b32 s0, vcc_lo
	s_cbranch_execz .LBB11_9
; %bb.7:
	s_waitcnt lgkmcnt(1)
	v_add_f32_e32 v4, v3, v4
	v_cvt_f32_i32_e32 v3, s10
	s_waitcnt lgkmcnt(0)
	v_add_f32_e32 v1, v1, v2
	s_mov_b32 s1, 0
	s_delay_alu instid0(VALU_DEP_2) | instskip(SKIP_1) | instid1(VALU_DEP_2)
	v_div_scale_f32 v7, null, v3, v3, v4
	v_div_scale_f32 v10, vcc_lo, v4, v3, v4
	v_rcp_f32_e32 v8, v7
	s_waitcnt_depctr 0xfff
	v_fma_f32 v9, -v7, v8, 1.0
	s_delay_alu instid0(VALU_DEP_1) | instskip(NEXT) | instid1(VALU_DEP_1)
	v_fmac_f32_e32 v8, v9, v8
	v_mul_f32_e32 v9, v10, v8
	s_delay_alu instid0(VALU_DEP_1) | instskip(NEXT) | instid1(VALU_DEP_1)
	v_fma_f32 v11, -v7, v9, v10
	v_fmac_f32_e32 v9, v11, v8
	s_delay_alu instid0(VALU_DEP_1) | instskip(NEXT) | instid1(VALU_DEP_1)
	v_fma_f32 v7, -v7, v9, v10
	v_div_fmas_f32 v7, v7, v8, v9
	s_delay_alu instid0(VALU_DEP_1) | instskip(NEXT) | instid1(VALU_DEP_1)
	v_div_fixup_f32 v7, v7, v3, v4
	v_add_f32_e32 v7, s11, v7
	v_fmac_f32_e32 v4, s11, v3
	s_delay_alu instid0(VALU_DEP_2) | instskip(SKIP_1) | instid1(VALU_DEP_2)
	v_mul_f32_e32 v8, 0x4b800000, v7
	v_cmp_gt_f32_e32 vcc_lo, 0x800000, v7
	v_cndmask_b32_e32 v7, v7, v8, vcc_lo
	s_delay_alu instid0(VALU_DEP_1) | instskip(SKIP_2) | instid1(VALU_DEP_1)
	v_rsq_f32_e32 v7, v7
	s_waitcnt_depctr 0xfff
	v_mul_f32_e32 v8, 0x45800000, v7
	v_cndmask_b32_e32 v7, v7, v8, vcc_lo
	s_delay_alu instid0(VALU_DEP_1) | instskip(NEXT) | instid1(VALU_DEP_1)
	v_mul_f32_e64 v8, v1, -v7
	v_div_scale_f32 v3, null, v4, v4, v8
	v_div_scale_f32 v10, vcc_lo, v8, v4, v8
	s_delay_alu instid0(VALU_DEP_2) | instskip(SKIP_2) | instid1(VALU_DEP_1)
	v_rcp_f32_e32 v9, v3
	s_waitcnt_depctr 0xfff
	v_fma_f32 v1, -v3, v9, 1.0
	v_fmac_f32_e32 v9, v1, v9
	v_mad_i64_i32 v[1:2], null, s10, v0, 0
	s_delay_alu instid0(VALU_DEP_2) | instskip(NEXT) | instid1(VALU_DEP_2)
	v_mul_f32_e32 v11, v10, v9
	v_lshlrev_b64 v[0:1], 2, v[1:2]
	s_delay_alu instid0(VALU_DEP_2) | instskip(NEXT) | instid1(VALU_DEP_2)
	v_fma_f32 v12, -v3, v11, v10
	v_add_co_u32 v5, s0, v0, v5
	s_delay_alu instid0(VALU_DEP_2) | instskip(NEXT) | instid1(VALU_DEP_4)
	v_fmac_f32_e32 v11, v12, v9
	v_add_co_ci_u32_e64 v12, s0, 0, v1, s0
	s_delay_alu instid0(VALU_DEP_3) | instskip(NEXT) | instid1(VALU_DEP_3)
	v_add_co_u32 v0, s0, s4, v5
	v_fma_f32 v2, -v3, v11, v10
	s_delay_alu instid0(VALU_DEP_3) | instskip(NEXT) | instid1(VALU_DEP_2)
	v_add_co_ci_u32_e64 v1, s0, s5, v12, s0
	v_div_fmas_f32 v9, v2, v9, v11
	v_add_co_u32 v2, vcc_lo, s6, v5
	v_add_co_ci_u32_e32 v3, vcc_lo, s7, v12, vcc_lo
	s_delay_alu instid0(VALU_DEP_3)
	v_div_fixup_f32 v8, v9, v4, v8
	v_add_co_u32 v4, vcc_lo, s8, v5
	v_add_co_ci_u32_e32 v5, vcc_lo, s9, v12, vcc_lo
	.p2align	6
.LBB11_8:                               ; =>This Inner Loop Header: Depth=1
	global_load_b32 v9, v[2:3], off
	global_load_b32 v10, v[0:1], off
	v_add_nc_u32_e32 v6, 0x400, v6
	v_add_co_u32 v0, vcc_lo, 0x1000, v0
	v_add_co_ci_u32_e32 v1, vcc_lo, 0, v1, vcc_lo
	v_add_co_u32 v2, vcc_lo, 0x1000, v2
	v_add_co_ci_u32_e32 v3, vcc_lo, 0, v3, vcc_lo
	s_waitcnt vmcnt(1)
	v_mul_f32_e32 v9, v8, v9
	v_cmp_le_i32_e32 vcc_lo, s10, v6
	s_waitcnt vmcnt(0)
	s_delay_alu instid0(VALU_DEP_2) | instskip(SKIP_3) | instid1(VALU_DEP_1)
	v_fmac_f32_e32 v9, v7, v10
	s_or_b32 s1, vcc_lo, s1
	global_store_b32 v[4:5], v9, off
	v_add_co_u32 v4, s0, 0x1000, v4
	v_add_co_ci_u32_e64 v5, s0, 0, v5, s0
	s_and_not1_b32 exec_lo, exec_lo, s1
	s_cbranch_execnz .LBB11_8
.LBB11_9:
	s_nop 0
	s_sendmsg sendmsg(MSG_DEALLOC_VGPRS)
	s_endpgm
	.section	.rodata,"a",@progbits
	.p2align	6, 0x0
	.amdhsa_kernel _ZL17rms_norm_back_f32ILi1024EEvPKfS1_Pfif
		.amdhsa_group_segment_fixed_size 256
		.amdhsa_private_segment_fixed_size 0
		.amdhsa_kernarg_size 288
		.amdhsa_user_sgpr_count 15
		.amdhsa_user_sgpr_dispatch_ptr 0
		.amdhsa_user_sgpr_queue_ptr 0
		.amdhsa_user_sgpr_kernarg_segment_ptr 1
		.amdhsa_user_sgpr_dispatch_id 0
		.amdhsa_user_sgpr_private_segment_size 0
		.amdhsa_wavefront_size32 1
		.amdhsa_uses_dynamic_stack 0
		.amdhsa_enable_private_segment 0
		.amdhsa_system_sgpr_workgroup_id_x 1
		.amdhsa_system_sgpr_workgroup_id_y 0
		.amdhsa_system_sgpr_workgroup_id_z 0
		.amdhsa_system_sgpr_workgroup_info 0
		.amdhsa_system_vgpr_workitem_id 1
		.amdhsa_next_free_vgpr 14
		.amdhsa_next_free_sgpr 16
		.amdhsa_reserve_vcc 1
		.amdhsa_float_round_mode_32 0
		.amdhsa_float_round_mode_16_64 0
		.amdhsa_float_denorm_mode_32 3
		.amdhsa_float_denorm_mode_16_64 3
		.amdhsa_dx10_clamp 1
		.amdhsa_ieee_mode 1
		.amdhsa_fp16_overflow 0
		.amdhsa_workgroup_processor_mode 1
		.amdhsa_memory_ordered 1
		.amdhsa_forward_progress 0
		.amdhsa_shared_vgpr_count 0
		.amdhsa_exception_fp_ieee_invalid_op 0
		.amdhsa_exception_fp_denorm_src 0
		.amdhsa_exception_fp_ieee_div_zero 0
		.amdhsa_exception_fp_ieee_overflow 0
		.amdhsa_exception_fp_ieee_underflow 0
		.amdhsa_exception_fp_ieee_inexact 0
		.amdhsa_exception_int_div_zero 0
	.end_amdhsa_kernel
	.section	.text._ZL17rms_norm_back_f32ILi1024EEvPKfS1_Pfif,"axG",@progbits,_ZL17rms_norm_back_f32ILi1024EEvPKfS1_Pfif,comdat
.Lfunc_end11:
	.size	_ZL17rms_norm_back_f32ILi1024EEvPKfS1_Pfif, .Lfunc_end11-_ZL17rms_norm_back_f32ILi1024EEvPKfS1_Pfif
                                        ; -- End function
	.section	.AMDGPU.csdata,"",@progbits
; Kernel info:
; codeLenInByte = 1312
; NumSgprs: 18
; NumVgprs: 14
; ScratchSize: 0
; MemoryBound: 0
; FloatMode: 240
; IeeeMode: 1
; LDSByteSize: 256 bytes/workgroup (compile time only)
; SGPRBlocks: 2
; VGPRBlocks: 1
; NumSGPRsForWavesPerEU: 18
; NumVGPRsForWavesPerEU: 14
; Occupancy: 16
; WaveLimiterHint : 0
; COMPUTE_PGM_RSRC2:SCRATCH_EN: 0
; COMPUTE_PGM_RSRC2:USER_SGPR: 15
; COMPUTE_PGM_RSRC2:TRAP_HANDLER: 0
; COMPUTE_PGM_RSRC2:TGID_X_EN: 1
; COMPUTE_PGM_RSRC2:TGID_Y_EN: 0
; COMPUTE_PGM_RSRC2:TGID_Z_EN: 0
; COMPUTE_PGM_RSRC2:TIDIG_COMP_CNT: 1
	.section	.text._ZL11l2_norm_f32ILi32EEvPKfPfilllf,"axG",@progbits,_ZL11l2_norm_f32ILi32EEvPKfPfilllf,comdat
	.globl	_ZL11l2_norm_f32ILi32EEvPKfPfilllf ; -- Begin function _ZL11l2_norm_f32ILi32EEvPKfPfilllf
	.p2align	8
	.type	_ZL11l2_norm_f32ILi32EEvPKfPfilllf,@function
_ZL11l2_norm_f32ILi32EEvPKfPfilllf:     ; @_ZL11l2_norm_f32ILi32EEvPKfPfilllf
; %bb.0:
	s_clause 0x4
	s_load_b32 s12, s[0:1], 0x10
	s_load_b64 s[2:3], s[0:1], 0x28
	s_load_b128 s[36:39], s[0:1], 0x18
	s_load_b128 s[4:7], s[0:1], 0x0
	s_load_b64 s[8:9], s[0:1], 0x38
	v_dual_mov_b32 v4, 0 :: v_dual_lshlrev_b32 v3, 2, v0
	s_ashr_i32 s10, s15, 31
	s_ashr_i32 s11, s14, 31
	;; [unrolled: 1-line block ×3, first 2 shown]
	s_waitcnt lgkmcnt(0)
	v_cmp_gt_i32_e32 vcc_lo, s12, v0
	s_mul_i32 s26, s2, s10
	s_mul_hi_u32 s28, s2, s15
	s_mul_i32 s23, s3, s15
	s_mul_i32 s18, s2, s15
	s_mul_i32 s25, s38, s11
	s_mul_hi_u32 s27, s38, s14
	s_mul_i32 s24, s39, s14
	s_mul_i32 s16, s38, s14
	;; [unrolled: 4-line block ×3, first 2 shown]
	s_and_saveexec_b32 s29, vcc_lo
	s_cbranch_execz .LBB12_4
; %bb.1:
	s_add_i32 s2, s28, s26
	s_add_i32 s3, s27, s25
	;; [unrolled: 1-line block ×4, first 2 shown]
	s_lshl_b64 s[2:3], s[18:19], 2
	s_lshl_b64 s[30:31], s[16:17], 2
	v_dual_mov_b32 v4, 0 :: v_dual_mov_b32 v5, v0
	s_add_u32 s17, s2, s30
	s_addc_u32 s19, s3, s31
	s_add_i32 s2, s22, s20
	s_delay_alu instid0(SALU_CYCLE_1) | instskip(NEXT) | instid1(SALU_CYCLE_1)
	s_add_i32 s11, s2, s21
	s_lshl_b64 s[2:3], s[10:11], 2
	s_mov_b32 s11, 0
	s_add_u32 s2, s17, s2
	s_addc_u32 s3, s19, s3
	s_add_u32 s2, s4, s2
	s_addc_u32 s3, s5, s3
	v_add_co_u32 v1, s2, s2, v3
	s_delay_alu instid0(VALU_DEP_1)
	v_add_co_ci_u32_e64 v2, null, s3, 0, s2
.LBB12_2:                               ; =>This Inner Loop Header: Depth=1
	global_load_b32 v6, v[1:2], off
	v_add_nc_u32_e32 v5, 32, v5
	v_add_co_u32 v1, s2, 0x80, v1
	s_delay_alu instid0(VALU_DEP_1) | instskip(SKIP_3) | instid1(VALU_DEP_1)
	v_add_co_ci_u32_e64 v2, s2, 0, v2, s2
	s_waitcnt vmcnt(0)
	v_fmac_f32_e32 v4, v6, v6
	v_cmp_le_i32_e64 s3, s12, v5
	s_or_b32 s11, s3, s11
	s_delay_alu instid0(SALU_CYCLE_1)
	s_and_not1_b32 exec_lo, exec_lo, s11
	s_cbranch_execnz .LBB12_2
; %bb.3:
	s_or_b32 exec_lo, exec_lo, s11
.LBB12_4:
	s_delay_alu instid0(SALU_CYCLE_1) | instskip(SKIP_1) | instid1(VALU_DEP_1)
	s_or_b32 exec_lo, exec_lo, s29
	v_mbcnt_lo_u32_b32 v1, -1, 0
	v_xor_b32_e32 v2, 16, v1
	v_xor_b32_e32 v5, 8, v1
	s_delay_alu instid0(VALU_DEP_2) | instskip(NEXT) | instid1(VALU_DEP_1)
	v_cmp_gt_i32_e64 s2, 32, v2
	v_cndmask_b32_e64 v2, v1, v2, s2
	s_delay_alu instid0(VALU_DEP_3) | instskip(NEXT) | instid1(VALU_DEP_2)
	v_cmp_gt_i32_e64 s2, 32, v5
	v_lshlrev_b32_e32 v2, 2, v2
	s_delay_alu instid0(VALU_DEP_2)
	v_cndmask_b32_e64 v5, v1, v5, s2
	ds_bpermute_b32 v2, v2, v4
	s_waitcnt lgkmcnt(0)
	v_dual_add_f32 v2, v4, v2 :: v_dual_lshlrev_b32 v5, 2, v5
	ds_bpermute_b32 v4, v5, v2
	v_xor_b32_e32 v5, 4, v1
	s_delay_alu instid0(VALU_DEP_1) | instskip(NEXT) | instid1(VALU_DEP_1)
	v_cmp_gt_i32_e64 s2, 32, v5
	v_cndmask_b32_e64 v5, v1, v5, s2
	s_waitcnt lgkmcnt(0)
	s_delay_alu instid0(VALU_DEP_1) | instskip(SKIP_2) | instid1(VALU_DEP_1)
	v_dual_add_f32 v2, v2, v4 :: v_dual_lshlrev_b32 v5, 2, v5
	ds_bpermute_b32 v4, v5, v2
	v_xor_b32_e32 v5, 2, v1
	v_cmp_gt_i32_e64 s2, 32, v5
	s_delay_alu instid0(VALU_DEP_1) | instskip(SKIP_1) | instid1(VALU_DEP_1)
	v_cndmask_b32_e64 v5, v1, v5, s2
	s_waitcnt lgkmcnt(0)
	v_dual_add_f32 v2, v2, v4 :: v_dual_lshlrev_b32 v5, 2, v5
	ds_bpermute_b32 v4, v5, v2
	v_xor_b32_e32 v5, 1, v1
	s_delay_alu instid0(VALU_DEP_1) | instskip(NEXT) | instid1(VALU_DEP_1)
	v_cmp_gt_i32_e64 s2, 32, v5
	v_cndmask_b32_e64 v5, v1, v5, s2
	s_mov_b32 s2, 0
	s_waitcnt lgkmcnt(0)
	s_delay_alu instid0(VALU_DEP_1)
	v_dual_add_f32 v1, v2, v4 :: v_dual_lshlrev_b32 v2, 2, v5
	ds_bpermute_b32 v2, v2, v1
	s_and_saveexec_b32 s3, vcc_lo
	s_cbranch_execz .LBB12_7
; %bb.5:
	s_load_b32 s0, s[0:1], 0x30
	s_waitcnt lgkmcnt(0)
	v_add_f32_e32 v1, v1, v2
	s_add_i32 s3, s27, s25
	s_add_i32 s1, s28, s26
	;; [unrolled: 1-line block ×4, first 2 shown]
	v_mul_f32_e64 v2, s0, s0
	s_mul_i32 s0, s9, s15
	s_delay_alu instid0(SALU_CYCLE_1) | instskip(NEXT) | instid1(SALU_CYCLE_1)
	s_add_i32 s0, s0, s14
	s_mul_i32 s3, s0, s8
	s_delay_alu instid0(VALU_DEP_1)
	v_max_f32_e32 v1, v1, v2
	s_add_i32 s3, s3, s13
	s_lshl_b64 s[0:1], s[18:19], 2
	s_mul_i32 s14, s3, s12
	s_lshl_b64 s[8:9], s[16:17], 2
	v_mul_f32_e32 v2, 0x4b800000, v1
	v_cmp_gt_f32_e32 vcc_lo, 0x800000, v1
	s_ashr_i32 s15, s14, 31
	s_add_u32 s3, s0, s8
	s_addc_u32 s8, s1, s9
	s_add_i32 s0, s22, s20
	v_cndmask_b32_e32 v1, v1, v2, vcc_lo
	s_add_i32 s11, s0, s21
	s_delay_alu instid0(SALU_CYCLE_1) | instskip(NEXT) | instid1(VALU_DEP_1)
	s_lshl_b64 s[0:1], s[10:11], 2
	v_rsq_f32_e32 v4, v1
	s_add_u32 s0, s3, s0
	s_addc_u32 s1, s8, s1
	s_add_u32 s3, s4, s0
	s_addc_u32 s4, s5, s1
	s_lshl_b64 s[0:1], s[14:15], 2
	v_add_co_u32 v1, s3, s3, v3
	s_add_u32 s0, s6, s0
	s_addc_u32 s1, s7, s1
	s_waitcnt_depctr 0xfff
	v_mul_f32_e32 v5, 0x45800000, v4
	v_add_co_u32 v3, s0, s0, v3
	v_add_co_ci_u32_e64 v2, null, s4, 0, s3
	s_delay_alu instid0(VALU_DEP_3)
	v_cndmask_b32_e32 v5, v4, v5, vcc_lo
	v_add_co_ci_u32_e64 v4, null, s1, 0, s0
	.p2align	6
.LBB12_6:                               ; =>This Inner Loop Header: Depth=1
	global_load_b32 v6, v[1:2], off
	v_add_nc_u32_e32 v0, 32, v0
	v_add_co_u32 v1, vcc_lo, 0x80, v1
	v_add_co_ci_u32_e32 v2, vcc_lo, 0, v2, vcc_lo
	s_delay_alu instid0(VALU_DEP_3)
	v_cmp_le_i32_e32 vcc_lo, s12, v0
	s_or_b32 s2, vcc_lo, s2
	s_waitcnt vmcnt(0)
	v_mul_f32_e32 v6, v5, v6
	global_store_b32 v[3:4], v6, off
	v_add_co_u32 v3, s0, 0x80, v3
	s_delay_alu instid0(VALU_DEP_1)
	v_add_co_ci_u32_e64 v4, s0, 0, v4, s0
	s_and_not1_b32 exec_lo, exec_lo, s2
	s_cbranch_execnz .LBB12_6
.LBB12_7:
	s_nop 0
	s_sendmsg sendmsg(MSG_DEALLOC_VGPRS)
	s_endpgm
	.section	.rodata,"a",@progbits
	.p2align	6, 0x0
	.amdhsa_kernel _ZL11l2_norm_f32ILi32EEvPKfPfilllf
		.amdhsa_group_segment_fixed_size 0
		.amdhsa_private_segment_fixed_size 0
		.amdhsa_kernarg_size 312
		.amdhsa_user_sgpr_count 13
		.amdhsa_user_sgpr_dispatch_ptr 0
		.amdhsa_user_sgpr_queue_ptr 0
		.amdhsa_user_sgpr_kernarg_segment_ptr 1
		.amdhsa_user_sgpr_dispatch_id 0
		.amdhsa_user_sgpr_private_segment_size 0
		.amdhsa_wavefront_size32 1
		.amdhsa_uses_dynamic_stack 0
		.amdhsa_enable_private_segment 0
		.amdhsa_system_sgpr_workgroup_id_x 1
		.amdhsa_system_sgpr_workgroup_id_y 1
		.amdhsa_system_sgpr_workgroup_id_z 1
		.amdhsa_system_sgpr_workgroup_info 0
		.amdhsa_system_vgpr_workitem_id 0
		.amdhsa_next_free_vgpr 7
		.amdhsa_next_free_sgpr 40
		.amdhsa_reserve_vcc 1
		.amdhsa_float_round_mode_32 0
		.amdhsa_float_round_mode_16_64 0
		.amdhsa_float_denorm_mode_32 3
		.amdhsa_float_denorm_mode_16_64 3
		.amdhsa_dx10_clamp 1
		.amdhsa_ieee_mode 1
		.amdhsa_fp16_overflow 0
		.amdhsa_workgroup_processor_mode 1
		.amdhsa_memory_ordered 1
		.amdhsa_forward_progress 0
		.amdhsa_shared_vgpr_count 0
		.amdhsa_exception_fp_ieee_invalid_op 0
		.amdhsa_exception_fp_denorm_src 0
		.amdhsa_exception_fp_ieee_div_zero 0
		.amdhsa_exception_fp_ieee_overflow 0
		.amdhsa_exception_fp_ieee_underflow 0
		.amdhsa_exception_fp_ieee_inexact 0
		.amdhsa_exception_int_div_zero 0
	.end_amdhsa_kernel
	.section	.text._ZL11l2_norm_f32ILi32EEvPKfPfilllf,"axG",@progbits,_ZL11l2_norm_f32ILi32EEvPKfPfilllf,comdat
.Lfunc_end12:
	.size	_ZL11l2_norm_f32ILi32EEvPKfPfilllf, .Lfunc_end12-_ZL11l2_norm_f32ILi32EEvPKfPfilllf
                                        ; -- End function
	.section	.AMDGPU.csdata,"",@progbits
; Kernel info:
; codeLenInByte = 860
; NumSgprs: 42
; NumVgprs: 7
; ScratchSize: 0
; MemoryBound: 0
; FloatMode: 240
; IeeeMode: 1
; LDSByteSize: 0 bytes/workgroup (compile time only)
; SGPRBlocks: 5
; VGPRBlocks: 0
; NumSGPRsForWavesPerEU: 42
; NumVGPRsForWavesPerEU: 7
; Occupancy: 16
; WaveLimiterHint : 0
; COMPUTE_PGM_RSRC2:SCRATCH_EN: 0
; COMPUTE_PGM_RSRC2:USER_SGPR: 13
; COMPUTE_PGM_RSRC2:TRAP_HANDLER: 0
; COMPUTE_PGM_RSRC2:TGID_X_EN: 1
; COMPUTE_PGM_RSRC2:TGID_Y_EN: 1
; COMPUTE_PGM_RSRC2:TGID_Z_EN: 1
; COMPUTE_PGM_RSRC2:TIDIG_COMP_CNT: 0
	.section	.text._ZL11l2_norm_f32ILi1024EEvPKfPfilllf,"axG",@progbits,_ZL11l2_norm_f32ILi1024EEvPKfPfilllf,comdat
	.globl	_ZL11l2_norm_f32ILi1024EEvPKfPfilllf ; -- Begin function _ZL11l2_norm_f32ILi1024EEvPKfPfilllf
	.p2align	8
	.type	_ZL11l2_norm_f32ILi1024EEvPKfPfilllf,@function
_ZL11l2_norm_f32ILi1024EEvPKfPfilllf:   ; @_ZL11l2_norm_f32ILi1024EEvPKfPfilllf
; %bb.0:
	s_clause 0x4
	s_load_b32 s12, s[0:1], 0x10
	s_load_b64 s[2:3], s[0:1], 0x28
	s_load_b128 s[36:39], s[0:1], 0x18
	s_load_b128 s[4:7], s[0:1], 0x0
	s_load_b64 s[8:9], s[0:1], 0x38
	v_dual_mov_b32 v4, 0 :: v_dual_lshlrev_b32 v3, 2, v0
	s_ashr_i32 s10, s15, 31
	s_ashr_i32 s11, s14, 31
	;; [unrolled: 1-line block ×3, first 2 shown]
	s_waitcnt lgkmcnt(0)
	v_cmp_gt_i32_e32 vcc_lo, s12, v0
	s_mul_i32 s26, s2, s10
	s_mul_hi_u32 s28, s2, s15
	s_mul_i32 s23, s3, s15
	s_mul_i32 s18, s2, s15
	s_mul_i32 s25, s38, s11
	s_mul_hi_u32 s27, s38, s14
	s_mul_i32 s24, s39, s14
	s_mul_i32 s16, s38, s14
	;; [unrolled: 4-line block ×3, first 2 shown]
	s_and_saveexec_b32 s29, vcc_lo
	s_cbranch_execz .LBB13_4
; %bb.1:
	s_add_i32 s2, s28, s26
	s_add_i32 s3, s27, s25
	;; [unrolled: 1-line block ×4, first 2 shown]
	s_lshl_b64 s[2:3], s[18:19], 2
	s_lshl_b64 s[30:31], s[16:17], 2
	v_dual_mov_b32 v4, 0 :: v_dual_mov_b32 v5, v0
	s_add_u32 s17, s2, s30
	s_addc_u32 s19, s3, s31
	s_add_i32 s2, s22, s20
	s_delay_alu instid0(SALU_CYCLE_1) | instskip(NEXT) | instid1(SALU_CYCLE_1)
	s_add_i32 s11, s2, s21
	s_lshl_b64 s[2:3], s[10:11], 2
	s_mov_b32 s11, 0
	s_add_u32 s2, s17, s2
	s_addc_u32 s3, s19, s3
	s_add_u32 s2, s4, s2
	s_addc_u32 s3, s5, s3
	v_add_co_u32 v1, s2, s2, v3
	s_delay_alu instid0(VALU_DEP_1)
	v_add_co_ci_u32_e64 v2, null, s3, 0, s2
.LBB13_2:                               ; =>This Inner Loop Header: Depth=1
	global_load_b32 v6, v[1:2], off
	v_add_nc_u32_e32 v5, 0x400, v5
	v_add_co_u32 v1, s2, 0x1000, v1
	s_delay_alu instid0(VALU_DEP_1) | instskip(SKIP_3) | instid1(VALU_DEP_1)
	v_add_co_ci_u32_e64 v2, s2, 0, v2, s2
	s_waitcnt vmcnt(0)
	v_fmac_f32_e32 v4, v6, v6
	v_cmp_le_i32_e64 s3, s12, v5
	s_or_b32 s11, s3, s11
	s_delay_alu instid0(SALU_CYCLE_1)
	s_and_not1_b32 exec_lo, exec_lo, s11
	s_cbranch_execnz .LBB13_2
; %bb.3:
	s_or_b32 exec_lo, exec_lo, s11
.LBB13_4:
	s_delay_alu instid0(SALU_CYCLE_1) | instskip(SKIP_2) | instid1(VALU_DEP_1)
	s_or_b32 exec_lo, exec_lo, s29
	v_mbcnt_lo_u32_b32 v6, -1, 0
	s_mov_b32 s3, exec_lo
	v_xor_b32_e32 v1, 16, v6
	v_xor_b32_e32 v2, 8, v6
	v_xor_b32_e32 v9, 1, v6
	s_delay_alu instid0(VALU_DEP_3) | instskip(NEXT) | instid1(VALU_DEP_1)
	v_cmp_gt_i32_e64 s2, 32, v1
	v_cndmask_b32_e64 v1, v6, v1, s2
	s_delay_alu instid0(VALU_DEP_4) | instskip(NEXT) | instid1(VALU_DEP_2)
	v_cmp_gt_i32_e64 s2, 32, v2
	v_lshlrev_b32_e32 v1, 2, v1
	s_delay_alu instid0(VALU_DEP_2)
	v_cndmask_b32_e64 v2, v6, v2, s2
	ds_bpermute_b32 v5, v1, v4
	s_waitcnt lgkmcnt(0)
	v_dual_add_f32 v5, v4, v5 :: v_dual_lshlrev_b32 v2, 2, v2
	v_xor_b32_e32 v4, 4, v6
	ds_bpermute_b32 v7, v2, v5
	v_cmp_gt_i32_e64 s2, 32, v4
	s_delay_alu instid0(VALU_DEP_1) | instskip(SKIP_1) | instid1(VALU_DEP_1)
	v_cndmask_b32_e64 v4, v6, v4, s2
	s_waitcnt lgkmcnt(0)
	v_dual_add_f32 v7, v5, v7 :: v_dual_lshlrev_b32 v4, 2, v4
	v_xor_b32_e32 v5, 2, v6
	ds_bpermute_b32 v8, v4, v7
	v_cmp_gt_i32_e64 s2, 32, v5
	s_delay_alu instid0(VALU_DEP_1) | instskip(SKIP_1) | instid1(VALU_DEP_2)
	v_cndmask_b32_e64 v5, v6, v5, s2
	v_cmp_gt_i32_e64 s2, 32, v9
	v_lshlrev_b32_e32 v5, 2, v5
	s_delay_alu instid0(VALU_DEP_2) | instskip(SKIP_1) | instid1(VALU_DEP_1)
	v_cndmask_b32_e64 v6, v6, v9, s2
	s_waitcnt lgkmcnt(0)
	v_dual_add_f32 v7, v7, v8 :: v_dual_lshlrev_b32 v6, 2, v6
	ds_bpermute_b32 v8, v5, v7
	s_waitcnt lgkmcnt(0)
	v_add_f32_e32 v8, v7, v8
	v_and_b32_e32 v7, 31, v0
	ds_bpermute_b32 v9, v6, v8
	v_cmpx_eq_u32_e32 0, v7
	s_cbranch_execz .LBB13_6
; %bb.5:
	v_lshrrev_b32_e32 v10, 3, v0
	s_waitcnt lgkmcnt(0)
	s_delay_alu instid0(VALU_DEP_1)
	v_dual_add_f32 v8, v8, v9 :: v_dual_add_nc_u32 v9, 0, v10
	ds_store_b32 v9, v8
.LBB13_6:
	s_or_b32 exec_lo, exec_lo, s3
	v_lshl_add_u32 v7, v7, 2, 0
	s_waitcnt lgkmcnt(0)
	s_barrier
	buffer_gl0_inv
	ds_load_b32 v7, v7
	s_waitcnt lgkmcnt(0)
	ds_bpermute_b32 v1, v1, v7
	s_waitcnt lgkmcnt(0)
	v_add_f32_e32 v1, v7, v1
	ds_bpermute_b32 v2, v2, v1
	s_waitcnt lgkmcnt(0)
	v_add_f32_e32 v1, v1, v2
	;; [unrolled: 3-line block ×4, first 2 shown]
	ds_bpermute_b32 v2, v6, v1
	s_and_saveexec_b32 s2, vcc_lo
	s_cbranch_execz .LBB13_9
; %bb.7:
	s_load_b32 s0, s[0:1], 0x30
	s_waitcnt lgkmcnt(0)
	v_add_f32_e32 v1, v1, v2
	s_add_i32 s2, s27, s25
	s_add_i32 s1, s28, s26
	;; [unrolled: 1-line block ×4, first 2 shown]
	v_mul_f32_e64 v2, s0, s0
	s_mul_i32 s0, s9, s15
	s_delay_alu instid0(SALU_CYCLE_1) | instskip(NEXT) | instid1(SALU_CYCLE_1)
	s_add_i32 s0, s0, s14
	s_mul_i32 s2, s0, s8
	s_delay_alu instid0(VALU_DEP_1)
	v_max_f32_e32 v1, v1, v2
	s_add_i32 s8, s2, s13
	s_lshl_b64 s[0:1], s[18:19], 2
	s_mul_i32 s8, s8, s12
	s_lshl_b64 s[2:3], s[16:17], 2
	v_mul_f32_e32 v2, 0x4b800000, v1
	v_cmp_gt_f32_e32 vcc_lo, 0x800000, v1
	s_ashr_i32 s9, s8, 31
	s_add_u32 s2, s0, s2
	s_addc_u32 s3, s1, s3
	s_add_i32 s0, s22, s20
	v_cndmask_b32_e32 v1, v1, v2, vcc_lo
	s_add_i32 s11, s0, s21
	s_delay_alu instid0(SALU_CYCLE_1) | instskip(NEXT) | instid1(VALU_DEP_1)
	s_lshl_b64 s[0:1], s[10:11], 2
	v_rsq_f32_e32 v4, v1
	s_add_u32 s0, s2, s0
	s_addc_u32 s1, s3, s1
	s_add_u32 s2, s4, s0
	s_addc_u32 s3, s5, s1
	s_lshl_b64 s[0:1], s[8:9], 2
	v_add_co_u32 v1, s2, s2, v3
	s_add_u32 s0, s6, s0
	s_addc_u32 s1, s7, s1
	s_waitcnt_depctr 0xfff
	v_mul_f32_e32 v5, 0x45800000, v4
	v_add_co_u32 v3, s0, s0, v3
	v_add_co_ci_u32_e64 v2, null, s3, 0, s2
	s_delay_alu instid0(VALU_DEP_3)
	v_cndmask_b32_e32 v5, v4, v5, vcc_lo
	v_add_co_ci_u32_e64 v4, null, s1, 0, s0
	s_mov_b32 s1, 0
	.p2align	6
.LBB13_8:                               ; =>This Inner Loop Header: Depth=1
	global_load_b32 v6, v[1:2], off
	v_add_nc_u32_e32 v0, 0x400, v0
	v_add_co_u32 v1, vcc_lo, 0x1000, v1
	v_add_co_ci_u32_e32 v2, vcc_lo, 0, v2, vcc_lo
	s_delay_alu instid0(VALU_DEP_3)
	v_cmp_le_i32_e32 vcc_lo, s12, v0
	s_or_b32 s1, vcc_lo, s1
	s_waitcnt vmcnt(0)
	v_mul_f32_e32 v6, v5, v6
	global_store_b32 v[3:4], v6, off
	v_add_co_u32 v3, s0, 0x1000, v3
	s_delay_alu instid0(VALU_DEP_1)
	v_add_co_ci_u32_e64 v4, s0, 0, v4, s0
	s_and_not1_b32 exec_lo, exec_lo, s1
	s_cbranch_execnz .LBB13_8
.LBB13_9:
	s_nop 0
	s_sendmsg sendmsg(MSG_DEALLOC_VGPRS)
	s_endpgm
	.section	.rodata,"a",@progbits
	.p2align	6, 0x0
	.amdhsa_kernel _ZL11l2_norm_f32ILi1024EEvPKfPfilllf
		.amdhsa_group_segment_fixed_size 0
		.amdhsa_private_segment_fixed_size 0
		.amdhsa_kernarg_size 312
		.amdhsa_user_sgpr_count 13
		.amdhsa_user_sgpr_dispatch_ptr 0
		.amdhsa_user_sgpr_queue_ptr 0
		.amdhsa_user_sgpr_kernarg_segment_ptr 1
		.amdhsa_user_sgpr_dispatch_id 0
		.amdhsa_user_sgpr_private_segment_size 0
		.amdhsa_wavefront_size32 1
		.amdhsa_uses_dynamic_stack 0
		.amdhsa_enable_private_segment 0
		.amdhsa_system_sgpr_workgroup_id_x 1
		.amdhsa_system_sgpr_workgroup_id_y 1
		.amdhsa_system_sgpr_workgroup_id_z 1
		.amdhsa_system_sgpr_workgroup_info 0
		.amdhsa_system_vgpr_workitem_id 0
		.amdhsa_next_free_vgpr 11
		.amdhsa_next_free_sgpr 40
		.amdhsa_reserve_vcc 1
		.amdhsa_float_round_mode_32 0
		.amdhsa_float_round_mode_16_64 0
		.amdhsa_float_denorm_mode_32 3
		.amdhsa_float_denorm_mode_16_64 3
		.amdhsa_dx10_clamp 1
		.amdhsa_ieee_mode 1
		.amdhsa_fp16_overflow 0
		.amdhsa_workgroup_processor_mode 1
		.amdhsa_memory_ordered 1
		.amdhsa_forward_progress 0
		.amdhsa_shared_vgpr_count 0
		.amdhsa_exception_fp_ieee_invalid_op 0
		.amdhsa_exception_fp_denorm_src 0
		.amdhsa_exception_fp_ieee_div_zero 0
		.amdhsa_exception_fp_ieee_overflow 0
		.amdhsa_exception_fp_ieee_underflow 0
		.amdhsa_exception_fp_ieee_inexact 0
		.amdhsa_exception_int_div_zero 0
	.end_amdhsa_kernel
	.section	.text._ZL11l2_norm_f32ILi1024EEvPKfPfilllf,"axG",@progbits,_ZL11l2_norm_f32ILi1024EEvPKfPfilllf,comdat
.Lfunc_end13:
	.size	_ZL11l2_norm_f32ILi1024EEvPKfPfilllf, .Lfunc_end13-_ZL11l2_norm_f32ILi1024EEvPKfPfilllf
                                        ; -- End function
	.section	.AMDGPU.csdata,"",@progbits
; Kernel info:
; codeLenInByte = 1016
; NumSgprs: 42
; NumVgprs: 11
; ScratchSize: 0
; MemoryBound: 0
; FloatMode: 240
; IeeeMode: 1
; LDSByteSize: 0 bytes/workgroup (compile time only)
; SGPRBlocks: 5
; VGPRBlocks: 1
; NumSGPRsForWavesPerEU: 42
; NumVGPRsForWavesPerEU: 11
; Occupancy: 16
; WaveLimiterHint : 0
; COMPUTE_PGM_RSRC2:SCRATCH_EN: 0
; COMPUTE_PGM_RSRC2:USER_SGPR: 13
; COMPUTE_PGM_RSRC2:TRAP_HANDLER: 0
; COMPUTE_PGM_RSRC2:TGID_X_EN: 1
; COMPUTE_PGM_RSRC2:TGID_Y_EN: 1
; COMPUTE_PGM_RSRC2:TGID_Z_EN: 1
; COMPUTE_PGM_RSRC2:TIDIG_COMP_CNT: 0
	.text
	.p2alignl 7, 3214868480
	.fill 96, 4, 3214868480
	.type	__hip_cuid_e8bd63f9be0a75e6,@object ; @__hip_cuid_e8bd63f9be0a75e6
	.section	.bss,"aw",@nobits
	.globl	__hip_cuid_e8bd63f9be0a75e6
__hip_cuid_e8bd63f9be0a75e6:
	.byte	0                               ; 0x0
	.size	__hip_cuid_e8bd63f9be0a75e6, 1

	.ident	"AMD clang version 19.0.0git (https://github.com/RadeonOpenCompute/llvm-project roc-6.4.0 25133 c7fe45cf4b819c5991fe208aaa96edf142730f1d)"
	.section	".note.GNU-stack","",@progbits
	.addrsig
	.addrsig_sym __hip_cuid_e8bd63f9be0a75e6
	.amdgpu_metadata
---
amdhsa.kernels:
  - .args:
      - .address_space:  global
        .offset:         0
        .size:           8
        .value_kind:     global_buffer
      - .address_space:  global
        .offset:         8
        .size:           8
        .value_kind:     global_buffer
      - .offset:         16
        .size:           4
        .value_kind:     by_value
      - .offset:         24
        .size:           8
        .value_kind:     by_value
      - .offset:         32
        .size:           8
        .value_kind:     by_value
      - .offset:         40
        .size:           8
        .value_kind:     by_value
      - .offset:         48
        .size:           4
        .value_kind:     by_value
      - .offset:         56
        .size:           4
        .value_kind:     hidden_block_count_x
      - .offset:         60
        .size:           4
        .value_kind:     hidden_block_count_y
      - .offset:         64
        .size:           4
        .value_kind:     hidden_block_count_z
      - .offset:         68
        .size:           2
        .value_kind:     hidden_group_size_x
      - .offset:         70
        .size:           2
        .value_kind:     hidden_group_size_y
      - .offset:         72
        .size:           2
        .value_kind:     hidden_group_size_z
      - .offset:         74
        .size:           2
        .value_kind:     hidden_remainder_x
      - .offset:         76
        .size:           2
        .value_kind:     hidden_remainder_y
      - .offset:         78
        .size:           2
        .value_kind:     hidden_remainder_z
      - .offset:         96
        .size:           8
        .value_kind:     hidden_global_offset_x
      - .offset:         104
        .size:           8
        .value_kind:     hidden_global_offset_y
      - .offset:         112
        .size:           8
        .value_kind:     hidden_global_offset_z
      - .offset:         120
        .size:           2
        .value_kind:     hidden_grid_dims
    .group_segment_fixed_size: 0
    .kernarg_segment_align: 8
    .kernarg_segment_size: 312
    .language:       OpenCL C
    .language_version:
      - 2
      - 0
    .max_flat_workgroup_size: 1024
    .name:           _ZL8norm_f32ILi32EEvPKfPfilllf
    .private_segment_fixed_size: 0
    .sgpr_count:     42
    .sgpr_spill_count: 0
    .symbol:         _ZL8norm_f32ILi32EEvPKfPfilllf.kd
    .uniform_work_group_size: 1
    .uses_dynamic_stack: false
    .vgpr_count:     15
    .vgpr_spill_count: 0
    .wavefront_size: 32
    .workgroup_processor_mode: 1
  - .args:
      - .address_space:  global
        .offset:         0
        .size:           8
        .value_kind:     global_buffer
      - .address_space:  global
        .offset:         8
        .size:           8
        .value_kind:     global_buffer
      - .offset:         16
        .size:           4
        .value_kind:     by_value
      - .offset:         24
        .size:           8
        .value_kind:     by_value
      - .offset:         32
        .size:           8
        .value_kind:     by_value
      - .offset:         40
        .size:           8
        .value_kind:     by_value
      - .offset:         48
        .size:           4
        .value_kind:     by_value
      - .offset:         56
        .size:           4
        .value_kind:     hidden_block_count_x
      - .offset:         60
        .size:           4
        .value_kind:     hidden_block_count_y
      - .offset:         64
        .size:           4
        .value_kind:     hidden_block_count_z
      - .offset:         68
        .size:           2
        .value_kind:     hidden_group_size_x
      - .offset:         70
        .size:           2
        .value_kind:     hidden_group_size_y
      - .offset:         72
        .size:           2
        .value_kind:     hidden_group_size_z
      - .offset:         74
        .size:           2
        .value_kind:     hidden_remainder_x
      - .offset:         76
        .size:           2
        .value_kind:     hidden_remainder_y
      - .offset:         78
        .size:           2
        .value_kind:     hidden_remainder_z
      - .offset:         96
        .size:           8
        .value_kind:     hidden_global_offset_x
      - .offset:         104
        .size:           8
        .value_kind:     hidden_global_offset_y
      - .offset:         112
        .size:           8
        .value_kind:     hidden_global_offset_z
      - .offset:         120
        .size:           2
        .value_kind:     hidden_grid_dims
      - .offset:         176
        .size:           4
        .value_kind:     hidden_dynamic_lds_size
    .group_segment_fixed_size: 0
    .kernarg_segment_align: 8
    .kernarg_segment_size: 312
    .language:       OpenCL C
    .language_version:
      - 2
      - 0
    .max_flat_workgroup_size: 1024
    .name:           _ZL8norm_f32ILi1024EEvPKfPfilllf
    .private_segment_fixed_size: 0
    .sgpr_count:     42
    .sgpr_spill_count: 0
    .symbol:         _ZL8norm_f32ILi1024EEvPKfPfilllf.kd
    .uniform_work_group_size: 1
    .uses_dynamic_stack: false
    .vgpr_count:     15
    .vgpr_spill_count: 0
    .wavefront_size: 32
    .workgroup_processor_mode: 1
  - .args:
      - .address_space:  global
        .offset:         0
        .size:           8
        .value_kind:     global_buffer
      - .address_space:  global
        .offset:         8
        .size:           8
        .value_kind:     global_buffer
      - .offset:         16
        .size:           4
        .value_kind:     by_value
      - .offset:         20
        .size:           4
        .value_kind:     by_value
      - .offset:         24
        .size:           4
        .value_kind:     by_value
    .group_segment_fixed_size: 0
    .kernarg_segment_align: 8
    .kernarg_segment_size: 28
    .language:       OpenCL C
    .language_version:
      - 2
      - 0
    .max_flat_workgroup_size: 1024
    .name:           _ZL14group_norm_f32ILi32EEvPKfPfiif
    .private_segment_fixed_size: 0
    .sgpr_count:     18
    .sgpr_spill_count: 0
    .symbol:         _ZL14group_norm_f32ILi32EEvPKfPfiif.kd
    .uniform_work_group_size: 1
    .uses_dynamic_stack: false
    .vgpr_count:     18
    .vgpr_spill_count: 0
    .wavefront_size: 32
    .workgroup_processor_mode: 1
  - .args:
      - .address_space:  global
        .offset:         0
        .size:           8
        .value_kind:     global_buffer
      - .address_space:  global
        .offset:         8
        .size:           8
        .value_kind:     global_buffer
      - .offset:         16
        .size:           4
        .value_kind:     by_value
      - .offset:         20
        .size:           4
        .value_kind:     by_value
      - .offset:         24
        .size:           4
        .value_kind:     by_value
    .group_segment_fixed_size: 0
    .kernarg_segment_align: 8
    .kernarg_segment_size: 28
    .language:       OpenCL C
    .language_version:
      - 2
      - 0
    .max_flat_workgroup_size: 1024
    .name:           _ZL14group_norm_f32ILi1024EEvPKfPfiif
    .private_segment_fixed_size: 0
    .sgpr_count:     18
    .sgpr_spill_count: 0
    .symbol:         _ZL14group_norm_f32ILi1024EEvPKfPfiif.kd
    .uniform_work_group_size: 1
    .uses_dynamic_stack: false
    .vgpr_count:     20
    .vgpr_spill_count: 0
    .wavefront_size: 32
    .workgroup_processor_mode: 1
  - .args:
      - .address_space:  global
        .offset:         0
        .size:           8
        .value_kind:     global_buffer
      - .address_space:  global
        .offset:         8
        .size:           8
        .value_kind:     global_buffer
      - .offset:         16
        .size:           4
        .value_kind:     by_value
      - .offset:         24
        .size:           8
        .value_kind:     by_value
      - .offset:         32
        .size:           8
        .value_kind:     by_value
      - .offset:         40
        .size:           8
        .value_kind:     by_value
      - .offset:         48
        .size:           4
        .value_kind:     by_value
      - .address_space:  global
        .offset:         56
        .size:           8
        .value_kind:     global_buffer
      - .offset:         64
        .size:           8
        .value_kind:     by_value
      - .offset:         72
        .size:           8
        .value_kind:     by_value
      - .offset:         80
        .size:           8
        .value_kind:     by_value
      - .offset:         88
        .size:           12
        .value_kind:     by_value
      - .offset:         100
        .size:           12
        .value_kind:     by_value
      - .offset:         112
        .size:           12
        .value_kind:     by_value
      - .offset:         124
        .size:           12
        .value_kind:     by_value
      - .address_space:  global
        .offset:         136
        .size:           8
        .value_kind:     global_buffer
      - .offset:         144
        .size:           8
        .value_kind:     by_value
      - .offset:         152
        .size:           8
        .value_kind:     by_value
      - .offset:         160
        .size:           8
        .value_kind:     by_value
      - .offset:         168
        .size:           12
        .value_kind:     by_value
      - .offset:         180
        .size:           12
        .value_kind:     by_value
      - .offset:         192
        .size:           12
        .value_kind:     by_value
      - .offset:         204
        .size:           12
        .value_kind:     by_value
      - .offset:         216
        .size:           4
        .value_kind:     hidden_block_count_x
      - .offset:         220
        .size:           4
        .value_kind:     hidden_block_count_y
      - .offset:         224
        .size:           4
        .value_kind:     hidden_block_count_z
      - .offset:         228
        .size:           2
        .value_kind:     hidden_group_size_x
      - .offset:         230
        .size:           2
        .value_kind:     hidden_group_size_y
      - .offset:         232
        .size:           2
        .value_kind:     hidden_group_size_z
      - .offset:         234
        .size:           2
        .value_kind:     hidden_remainder_x
      - .offset:         236
        .size:           2
        .value_kind:     hidden_remainder_y
      - .offset:         238
        .size:           2
        .value_kind:     hidden_remainder_z
      - .offset:         256
        .size:           8
        .value_kind:     hidden_global_offset_x
      - .offset:         264
        .size:           8
        .value_kind:     hidden_global_offset_y
      - .offset:         272
        .size:           8
        .value_kind:     hidden_global_offset_z
      - .offset:         280
        .size:           2
        .value_kind:     hidden_grid_dims
      - .offset:         336
        .size:           4
        .value_kind:     hidden_dynamic_lds_size
    .group_segment_fixed_size: 0
    .kernarg_segment_align: 8
    .kernarg_segment_size: 472
    .language:       OpenCL C
    .language_version:
      - 2
      - 0
    .max_flat_workgroup_size: 1024
    .name:           _ZL12rms_norm_f32ILi256ELb0ELb0EEvPKfPfilllfS1_lll15HIP_vector_typeIjLj3EES4_S4_S4_S1_lllS4_S4_S4_S4_
    .private_segment_fixed_size: 0
    .sgpr_count:     42
    .sgpr_spill_count: 0
    .symbol:         _ZL12rms_norm_f32ILi256ELb0ELb0EEvPKfPfilllfS1_lll15HIP_vector_typeIjLj3EES4_S4_S4_S1_lllS4_S4_S4_S4_.kd
    .uniform_work_group_size: 1
    .uses_dynamic_stack: false
    .vgpr_count:     11
    .vgpr_spill_count: 0
    .wavefront_size: 32
    .workgroup_processor_mode: 1
  - .args:
      - .address_space:  global
        .offset:         0
        .size:           8
        .value_kind:     global_buffer
      - .address_space:  global
        .offset:         8
        .size:           8
        .value_kind:     global_buffer
      - .offset:         16
        .size:           4
        .value_kind:     by_value
      - .offset:         24
        .size:           8
        .value_kind:     by_value
      - .offset:         32
        .size:           8
        .value_kind:     by_value
      - .offset:         40
        .size:           8
        .value_kind:     by_value
      - .offset:         48
        .size:           4
        .value_kind:     by_value
      - .address_space:  global
        .offset:         56
        .size:           8
        .value_kind:     global_buffer
      - .offset:         64
        .size:           8
        .value_kind:     by_value
      - .offset:         72
        .size:           8
        .value_kind:     by_value
      - .offset:         80
        .size:           8
        .value_kind:     by_value
      - .offset:         88
        .size:           12
        .value_kind:     by_value
      - .offset:         100
        .size:           12
        .value_kind:     by_value
      - .offset:         112
        .size:           12
        .value_kind:     by_value
      - .offset:         124
        .size:           12
        .value_kind:     by_value
      - .address_space:  global
        .offset:         136
        .size:           8
        .value_kind:     global_buffer
      - .offset:         144
        .size:           8
        .value_kind:     by_value
      - .offset:         152
        .size:           8
        .value_kind:     by_value
      - .offset:         160
        .size:           8
        .value_kind:     by_value
      - .offset:         168
        .size:           12
        .value_kind:     by_value
      - .offset:         180
        .size:           12
        .value_kind:     by_value
      - .offset:         192
        .size:           12
        .value_kind:     by_value
      - .offset:         204
        .size:           12
        .value_kind:     by_value
      - .offset:         216
        .size:           4
        .value_kind:     hidden_block_count_x
      - .offset:         220
        .size:           4
        .value_kind:     hidden_block_count_y
      - .offset:         224
        .size:           4
        .value_kind:     hidden_block_count_z
      - .offset:         228
        .size:           2
        .value_kind:     hidden_group_size_x
      - .offset:         230
        .size:           2
        .value_kind:     hidden_group_size_y
      - .offset:         232
        .size:           2
        .value_kind:     hidden_group_size_z
      - .offset:         234
        .size:           2
        .value_kind:     hidden_remainder_x
      - .offset:         236
        .size:           2
        .value_kind:     hidden_remainder_y
      - .offset:         238
        .size:           2
        .value_kind:     hidden_remainder_z
      - .offset:         256
        .size:           8
        .value_kind:     hidden_global_offset_x
      - .offset:         264
        .size:           8
        .value_kind:     hidden_global_offset_y
      - .offset:         272
        .size:           8
        .value_kind:     hidden_global_offset_z
      - .offset:         280
        .size:           2
        .value_kind:     hidden_grid_dims
      - .offset:         336
        .size:           4
        .value_kind:     hidden_dynamic_lds_size
    .group_segment_fixed_size: 0
    .kernarg_segment_align: 8
    .kernarg_segment_size: 472
    .language:       OpenCL C
    .language_version:
      - 2
      - 0
    .max_flat_workgroup_size: 1024
    .name:           _ZL12rms_norm_f32ILi1024ELb0ELb0EEvPKfPfilllfS1_lll15HIP_vector_typeIjLj3EES4_S4_S4_S1_lllS4_S4_S4_S4_
    .private_segment_fixed_size: 0
    .sgpr_count:     42
    .sgpr_spill_count: 0
    .symbol:         _ZL12rms_norm_f32ILi1024ELb0ELb0EEvPKfPfilllfS1_lll15HIP_vector_typeIjLj3EES4_S4_S4_S1_lllS4_S4_S4_S4_.kd
    .uniform_work_group_size: 1
    .uses_dynamic_stack: false
    .vgpr_count:     11
    .vgpr_spill_count: 0
    .wavefront_size: 32
    .workgroup_processor_mode: 1
  - .args:
      - .address_space:  global
        .offset:         0
        .size:           8
        .value_kind:     global_buffer
      - .address_space:  global
        .offset:         8
        .size:           8
        .value_kind:     global_buffer
      - .offset:         16
        .size:           4
        .value_kind:     by_value
      - .offset:         24
        .size:           8
        .value_kind:     by_value
      - .offset:         32
        .size:           8
        .value_kind:     by_value
      - .offset:         40
        .size:           8
        .value_kind:     by_value
      - .offset:         48
        .size:           4
        .value_kind:     by_value
      - .address_space:  global
        .offset:         56
        .size:           8
        .value_kind:     global_buffer
      - .offset:         64
        .size:           8
        .value_kind:     by_value
      - .offset:         72
        .size:           8
        .value_kind:     by_value
      - .offset:         80
        .size:           8
        .value_kind:     by_value
      - .offset:         88
        .size:           12
        .value_kind:     by_value
      - .offset:         100
        .size:           12
        .value_kind:     by_value
      - .offset:         112
        .size:           12
        .value_kind:     by_value
      - .offset:         124
        .size:           12
        .value_kind:     by_value
      - .address_space:  global
        .offset:         136
        .size:           8
        .value_kind:     global_buffer
      - .offset:         144
        .size:           8
        .value_kind:     by_value
      - .offset:         152
        .size:           8
        .value_kind:     by_value
      - .offset:         160
        .size:           8
        .value_kind:     by_value
      - .offset:         168
        .size:           12
        .value_kind:     by_value
      - .offset:         180
        .size:           12
        .value_kind:     by_value
      - .offset:         192
        .size:           12
        .value_kind:     by_value
      - .offset:         204
        .size:           12
        .value_kind:     by_value
      - .offset:         216
        .size:           4
        .value_kind:     hidden_block_count_x
      - .offset:         220
        .size:           4
        .value_kind:     hidden_block_count_y
      - .offset:         224
        .size:           4
        .value_kind:     hidden_block_count_z
      - .offset:         228
        .size:           2
        .value_kind:     hidden_group_size_x
      - .offset:         230
        .size:           2
        .value_kind:     hidden_group_size_y
      - .offset:         232
        .size:           2
        .value_kind:     hidden_group_size_z
      - .offset:         234
        .size:           2
        .value_kind:     hidden_remainder_x
      - .offset:         236
        .size:           2
        .value_kind:     hidden_remainder_y
      - .offset:         238
        .size:           2
        .value_kind:     hidden_remainder_z
      - .offset:         256
        .size:           8
        .value_kind:     hidden_global_offset_x
      - .offset:         264
        .size:           8
        .value_kind:     hidden_global_offset_y
      - .offset:         272
        .size:           8
        .value_kind:     hidden_global_offset_z
      - .offset:         280
        .size:           2
        .value_kind:     hidden_grid_dims
      - .offset:         336
        .size:           4
        .value_kind:     hidden_dynamic_lds_size
    .group_segment_fixed_size: 0
    .kernarg_segment_align: 8
    .kernarg_segment_size: 472
    .language:       OpenCL C
    .language_version:
      - 2
      - 0
    .max_flat_workgroup_size: 1024
    .name:           _ZL12rms_norm_f32ILi256ELb1ELb0EEvPKfPfilllfS1_lll15HIP_vector_typeIjLj3EES4_S4_S4_S1_lllS4_S4_S4_S4_
    .private_segment_fixed_size: 0
    .sgpr_count:     52
    .sgpr_spill_count: 0
    .symbol:         _ZL12rms_norm_f32ILi256ELb1ELb0EEvPKfPfilllfS1_lll15HIP_vector_typeIjLj3EES4_S4_S4_S1_lllS4_S4_S4_S4_.kd
    .uniform_work_group_size: 1
    .uses_dynamic_stack: false
    .vgpr_count:     11
    .vgpr_spill_count: 0
    .wavefront_size: 32
    .workgroup_processor_mode: 1
  - .args:
      - .address_space:  global
        .offset:         0
        .size:           8
        .value_kind:     global_buffer
      - .address_space:  global
        .offset:         8
        .size:           8
        .value_kind:     global_buffer
      - .offset:         16
        .size:           4
        .value_kind:     by_value
      - .offset:         24
        .size:           8
        .value_kind:     by_value
      - .offset:         32
        .size:           8
        .value_kind:     by_value
      - .offset:         40
        .size:           8
        .value_kind:     by_value
      - .offset:         48
        .size:           4
        .value_kind:     by_value
      - .address_space:  global
        .offset:         56
        .size:           8
        .value_kind:     global_buffer
      - .offset:         64
        .size:           8
        .value_kind:     by_value
      - .offset:         72
        .size:           8
        .value_kind:     by_value
      - .offset:         80
        .size:           8
        .value_kind:     by_value
      - .offset:         88
        .size:           12
        .value_kind:     by_value
      - .offset:         100
        .size:           12
        .value_kind:     by_value
      - .offset:         112
        .size:           12
        .value_kind:     by_value
      - .offset:         124
        .size:           12
        .value_kind:     by_value
      - .address_space:  global
        .offset:         136
        .size:           8
        .value_kind:     global_buffer
      - .offset:         144
        .size:           8
        .value_kind:     by_value
      - .offset:         152
        .size:           8
        .value_kind:     by_value
      - .offset:         160
        .size:           8
        .value_kind:     by_value
      - .offset:         168
        .size:           12
        .value_kind:     by_value
      - .offset:         180
        .size:           12
        .value_kind:     by_value
      - .offset:         192
        .size:           12
        .value_kind:     by_value
      - .offset:         204
        .size:           12
        .value_kind:     by_value
      - .offset:         216
        .size:           4
        .value_kind:     hidden_block_count_x
      - .offset:         220
        .size:           4
        .value_kind:     hidden_block_count_y
      - .offset:         224
        .size:           4
        .value_kind:     hidden_block_count_z
      - .offset:         228
        .size:           2
        .value_kind:     hidden_group_size_x
      - .offset:         230
        .size:           2
        .value_kind:     hidden_group_size_y
      - .offset:         232
        .size:           2
        .value_kind:     hidden_group_size_z
      - .offset:         234
        .size:           2
        .value_kind:     hidden_remainder_x
      - .offset:         236
        .size:           2
        .value_kind:     hidden_remainder_y
      - .offset:         238
        .size:           2
        .value_kind:     hidden_remainder_z
      - .offset:         256
        .size:           8
        .value_kind:     hidden_global_offset_x
      - .offset:         264
        .size:           8
        .value_kind:     hidden_global_offset_y
      - .offset:         272
        .size:           8
        .value_kind:     hidden_global_offset_z
      - .offset:         280
        .size:           2
        .value_kind:     hidden_grid_dims
      - .offset:         336
        .size:           4
        .value_kind:     hidden_dynamic_lds_size
    .group_segment_fixed_size: 0
    .kernarg_segment_align: 8
    .kernarg_segment_size: 472
    .language:       OpenCL C
    .language_version:
      - 2
      - 0
    .max_flat_workgroup_size: 1024
    .name:           _ZL12rms_norm_f32ILi1024ELb1ELb0EEvPKfPfilllfS1_lll15HIP_vector_typeIjLj3EES4_S4_S4_S1_lllS4_S4_S4_S4_
    .private_segment_fixed_size: 0
    .sgpr_count:     52
    .sgpr_spill_count: 0
    .symbol:         _ZL12rms_norm_f32ILi1024ELb1ELb0EEvPKfPfilllfS1_lll15HIP_vector_typeIjLj3EES4_S4_S4_S1_lllS4_S4_S4_S4_.kd
    .uniform_work_group_size: 1
    .uses_dynamic_stack: false
    .vgpr_count:     11
    .vgpr_spill_count: 0
    .wavefront_size: 32
    .workgroup_processor_mode: 1
  - .args:
      - .address_space:  global
        .offset:         0
        .size:           8
        .value_kind:     global_buffer
      - .address_space:  global
        .offset:         8
        .size:           8
        .value_kind:     global_buffer
      - .offset:         16
        .size:           4
        .value_kind:     by_value
      - .offset:         24
        .size:           8
        .value_kind:     by_value
      - .offset:         32
        .size:           8
        .value_kind:     by_value
      - .offset:         40
        .size:           8
        .value_kind:     by_value
      - .offset:         48
        .size:           4
        .value_kind:     by_value
      - .address_space:  global
        .offset:         56
        .size:           8
        .value_kind:     global_buffer
      - .offset:         64
        .size:           8
        .value_kind:     by_value
      - .offset:         72
        .size:           8
        .value_kind:     by_value
      - .offset:         80
        .size:           8
        .value_kind:     by_value
      - .offset:         88
        .size:           12
        .value_kind:     by_value
      - .offset:         100
        .size:           12
        .value_kind:     by_value
      - .offset:         112
        .size:           12
        .value_kind:     by_value
      - .offset:         124
        .size:           12
        .value_kind:     by_value
      - .address_space:  global
        .offset:         136
        .size:           8
        .value_kind:     global_buffer
      - .offset:         144
        .size:           8
        .value_kind:     by_value
      - .offset:         152
        .size:           8
        .value_kind:     by_value
      - .offset:         160
        .size:           8
        .value_kind:     by_value
      - .offset:         168
        .size:           12
        .value_kind:     by_value
      - .offset:         180
        .size:           12
        .value_kind:     by_value
      - .offset:         192
        .size:           12
        .value_kind:     by_value
      - .offset:         204
        .size:           12
        .value_kind:     by_value
      - .offset:         216
        .size:           4
        .value_kind:     hidden_block_count_x
      - .offset:         220
        .size:           4
        .value_kind:     hidden_block_count_y
      - .offset:         224
        .size:           4
        .value_kind:     hidden_block_count_z
      - .offset:         228
        .size:           2
        .value_kind:     hidden_group_size_x
      - .offset:         230
        .size:           2
        .value_kind:     hidden_group_size_y
      - .offset:         232
        .size:           2
        .value_kind:     hidden_group_size_z
      - .offset:         234
        .size:           2
        .value_kind:     hidden_remainder_x
      - .offset:         236
        .size:           2
        .value_kind:     hidden_remainder_y
      - .offset:         238
        .size:           2
        .value_kind:     hidden_remainder_z
      - .offset:         256
        .size:           8
        .value_kind:     hidden_global_offset_x
      - .offset:         264
        .size:           8
        .value_kind:     hidden_global_offset_y
      - .offset:         272
        .size:           8
        .value_kind:     hidden_global_offset_z
      - .offset:         280
        .size:           2
        .value_kind:     hidden_grid_dims
      - .offset:         336
        .size:           4
        .value_kind:     hidden_dynamic_lds_size
    .group_segment_fixed_size: 0
    .kernarg_segment_align: 8
    .kernarg_segment_size: 472
    .language:       OpenCL C
    .language_version:
      - 2
      - 0
    .max_flat_workgroup_size: 1024
    .name:           _ZL12rms_norm_f32ILi256ELb1ELb1EEvPKfPfilllfS1_lll15HIP_vector_typeIjLj3EES4_S4_S4_S1_lllS4_S4_S4_S4_
    .private_segment_fixed_size: 0
    .sgpr_count:     72
    .sgpr_spill_count: 0
    .symbol:         _ZL12rms_norm_f32ILi256ELb1ELb1EEvPKfPfilllfS1_lll15HIP_vector_typeIjLj3EES4_S4_S4_S1_lllS4_S4_S4_S4_.kd
    .uniform_work_group_size: 1
    .uses_dynamic_stack: false
    .vgpr_count:     16
    .vgpr_spill_count: 0
    .wavefront_size: 32
    .workgroup_processor_mode: 1
  - .args:
      - .address_space:  global
        .offset:         0
        .size:           8
        .value_kind:     global_buffer
      - .address_space:  global
        .offset:         8
        .size:           8
        .value_kind:     global_buffer
      - .offset:         16
        .size:           4
        .value_kind:     by_value
      - .offset:         24
        .size:           8
        .value_kind:     by_value
      - .offset:         32
        .size:           8
        .value_kind:     by_value
      - .offset:         40
        .size:           8
        .value_kind:     by_value
      - .offset:         48
        .size:           4
        .value_kind:     by_value
      - .address_space:  global
        .offset:         56
        .size:           8
        .value_kind:     global_buffer
      - .offset:         64
        .size:           8
        .value_kind:     by_value
      - .offset:         72
        .size:           8
        .value_kind:     by_value
      - .offset:         80
        .size:           8
        .value_kind:     by_value
      - .offset:         88
        .size:           12
        .value_kind:     by_value
      - .offset:         100
        .size:           12
        .value_kind:     by_value
      - .offset:         112
        .size:           12
        .value_kind:     by_value
      - .offset:         124
        .size:           12
        .value_kind:     by_value
      - .address_space:  global
        .offset:         136
        .size:           8
        .value_kind:     global_buffer
      - .offset:         144
        .size:           8
        .value_kind:     by_value
      - .offset:         152
        .size:           8
        .value_kind:     by_value
      - .offset:         160
        .size:           8
        .value_kind:     by_value
      - .offset:         168
        .size:           12
        .value_kind:     by_value
      - .offset:         180
        .size:           12
        .value_kind:     by_value
      - .offset:         192
        .size:           12
        .value_kind:     by_value
      - .offset:         204
        .size:           12
        .value_kind:     by_value
      - .offset:         216
        .size:           4
        .value_kind:     hidden_block_count_x
      - .offset:         220
        .size:           4
        .value_kind:     hidden_block_count_y
      - .offset:         224
        .size:           4
        .value_kind:     hidden_block_count_z
      - .offset:         228
        .size:           2
        .value_kind:     hidden_group_size_x
      - .offset:         230
        .size:           2
        .value_kind:     hidden_group_size_y
      - .offset:         232
        .size:           2
        .value_kind:     hidden_group_size_z
      - .offset:         234
        .size:           2
        .value_kind:     hidden_remainder_x
      - .offset:         236
        .size:           2
        .value_kind:     hidden_remainder_y
      - .offset:         238
        .size:           2
        .value_kind:     hidden_remainder_z
      - .offset:         256
        .size:           8
        .value_kind:     hidden_global_offset_x
      - .offset:         264
        .size:           8
        .value_kind:     hidden_global_offset_y
      - .offset:         272
        .size:           8
        .value_kind:     hidden_global_offset_z
      - .offset:         280
        .size:           2
        .value_kind:     hidden_grid_dims
      - .offset:         336
        .size:           4
        .value_kind:     hidden_dynamic_lds_size
    .group_segment_fixed_size: 0
    .kernarg_segment_align: 8
    .kernarg_segment_size: 472
    .language:       OpenCL C
    .language_version:
      - 2
      - 0
    .max_flat_workgroup_size: 1024
    .name:           _ZL12rms_norm_f32ILi1024ELb1ELb1EEvPKfPfilllfS1_lll15HIP_vector_typeIjLj3EES4_S4_S4_S1_lllS4_S4_S4_S4_
    .private_segment_fixed_size: 0
    .sgpr_count:     72
    .sgpr_spill_count: 0
    .symbol:         _ZL12rms_norm_f32ILi1024ELb1ELb1EEvPKfPfilllfS1_lll15HIP_vector_typeIjLj3EES4_S4_S4_S1_lllS4_S4_S4_S4_.kd
    .uniform_work_group_size: 1
    .uses_dynamic_stack: false
    .vgpr_count:     16
    .vgpr_spill_count: 0
    .wavefront_size: 32
    .workgroup_processor_mode: 1
  - .args:
      - .address_space:  global
        .offset:         0
        .size:           8
        .value_kind:     global_buffer
      - .address_space:  global
        .offset:         8
        .size:           8
        .value_kind:     global_buffer
      - .address_space:  global
        .offset:         16
        .size:           8
        .value_kind:     global_buffer
      - .offset:         24
        .size:           4
        .value_kind:     by_value
      - .offset:         28
        .size:           4
        .value_kind:     by_value
      - .offset:         32
        .size:           4
        .value_kind:     hidden_block_count_x
      - .offset:         36
        .size:           4
        .value_kind:     hidden_block_count_y
      - .offset:         40
        .size:           4
        .value_kind:     hidden_block_count_z
      - .offset:         44
        .size:           2
        .value_kind:     hidden_group_size_x
      - .offset:         46
        .size:           2
        .value_kind:     hidden_group_size_y
      - .offset:         48
        .size:           2
        .value_kind:     hidden_group_size_z
      - .offset:         50
        .size:           2
        .value_kind:     hidden_remainder_x
      - .offset:         52
        .size:           2
        .value_kind:     hidden_remainder_y
      - .offset:         54
        .size:           2
        .value_kind:     hidden_remainder_z
      - .offset:         72
        .size:           8
        .value_kind:     hidden_global_offset_x
      - .offset:         80
        .size:           8
        .value_kind:     hidden_global_offset_y
      - .offset:         88
        .size:           8
        .value_kind:     hidden_global_offset_z
      - .offset:         96
        .size:           2
        .value_kind:     hidden_grid_dims
    .group_segment_fixed_size: 0
    .kernarg_segment_align: 8
    .kernarg_segment_size: 288
    .language:       OpenCL C
    .language_version:
      - 2
      - 0
    .max_flat_workgroup_size: 1024
    .name:           _ZL17rms_norm_back_f32ILi32EEvPKfS1_Pfif
    .private_segment_fixed_size: 0
    .sgpr_count:     18
    .sgpr_spill_count: 0
    .symbol:         _ZL17rms_norm_back_f32ILi32EEvPKfS1_Pfif.kd
    .uniform_work_group_size: 1
    .uses_dynamic_stack: false
    .vgpr_count:     13
    .vgpr_spill_count: 0
    .wavefront_size: 32
    .workgroup_processor_mode: 1
  - .args:
      - .address_space:  global
        .offset:         0
        .size:           8
        .value_kind:     global_buffer
      - .address_space:  global
        .offset:         8
        .size:           8
        .value_kind:     global_buffer
      - .address_space:  global
        .offset:         16
        .size:           8
        .value_kind:     global_buffer
      - .offset:         24
        .size:           4
        .value_kind:     by_value
      - .offset:         28
        .size:           4
        .value_kind:     by_value
      - .offset:         32
        .size:           4
        .value_kind:     hidden_block_count_x
      - .offset:         36
        .size:           4
        .value_kind:     hidden_block_count_y
      - .offset:         40
        .size:           4
        .value_kind:     hidden_block_count_z
      - .offset:         44
        .size:           2
        .value_kind:     hidden_group_size_x
      - .offset:         46
        .size:           2
        .value_kind:     hidden_group_size_y
      - .offset:         48
        .size:           2
        .value_kind:     hidden_group_size_z
      - .offset:         50
        .size:           2
        .value_kind:     hidden_remainder_x
      - .offset:         52
        .size:           2
        .value_kind:     hidden_remainder_y
      - .offset:         54
        .size:           2
        .value_kind:     hidden_remainder_z
      - .offset:         72
        .size:           8
        .value_kind:     hidden_global_offset_x
      - .offset:         80
        .size:           8
        .value_kind:     hidden_global_offset_y
      - .offset:         88
        .size:           8
        .value_kind:     hidden_global_offset_z
      - .offset:         96
        .size:           2
        .value_kind:     hidden_grid_dims
    .group_segment_fixed_size: 256
    .kernarg_segment_align: 8
    .kernarg_segment_size: 288
    .language:       OpenCL C
    .language_version:
      - 2
      - 0
    .max_flat_workgroup_size: 1024
    .name:           _ZL17rms_norm_back_f32ILi1024EEvPKfS1_Pfif
    .private_segment_fixed_size: 0
    .sgpr_count:     18
    .sgpr_spill_count: 0
    .symbol:         _ZL17rms_norm_back_f32ILi1024EEvPKfS1_Pfif.kd
    .uniform_work_group_size: 1
    .uses_dynamic_stack: false
    .vgpr_count:     14
    .vgpr_spill_count: 0
    .wavefront_size: 32
    .workgroup_processor_mode: 1
  - .args:
      - .address_space:  global
        .offset:         0
        .size:           8
        .value_kind:     global_buffer
      - .address_space:  global
        .offset:         8
        .size:           8
        .value_kind:     global_buffer
      - .offset:         16
        .size:           4
        .value_kind:     by_value
      - .offset:         24
        .size:           8
        .value_kind:     by_value
      - .offset:         32
        .size:           8
        .value_kind:     by_value
      - .offset:         40
        .size:           8
        .value_kind:     by_value
      - .offset:         48
        .size:           4
        .value_kind:     by_value
      - .offset:         56
        .size:           4
        .value_kind:     hidden_block_count_x
      - .offset:         60
        .size:           4
        .value_kind:     hidden_block_count_y
      - .offset:         64
        .size:           4
        .value_kind:     hidden_block_count_z
      - .offset:         68
        .size:           2
        .value_kind:     hidden_group_size_x
      - .offset:         70
        .size:           2
        .value_kind:     hidden_group_size_y
      - .offset:         72
        .size:           2
        .value_kind:     hidden_group_size_z
      - .offset:         74
        .size:           2
        .value_kind:     hidden_remainder_x
      - .offset:         76
        .size:           2
        .value_kind:     hidden_remainder_y
      - .offset:         78
        .size:           2
        .value_kind:     hidden_remainder_z
      - .offset:         96
        .size:           8
        .value_kind:     hidden_global_offset_x
      - .offset:         104
        .size:           8
        .value_kind:     hidden_global_offset_y
      - .offset:         112
        .size:           8
        .value_kind:     hidden_global_offset_z
      - .offset:         120
        .size:           2
        .value_kind:     hidden_grid_dims
    .group_segment_fixed_size: 0
    .kernarg_segment_align: 8
    .kernarg_segment_size: 312
    .language:       OpenCL C
    .language_version:
      - 2
      - 0
    .max_flat_workgroup_size: 1024
    .name:           _ZL11l2_norm_f32ILi32EEvPKfPfilllf
    .private_segment_fixed_size: 0
    .sgpr_count:     42
    .sgpr_spill_count: 0
    .symbol:         _ZL11l2_norm_f32ILi32EEvPKfPfilllf.kd
    .uniform_work_group_size: 1
    .uses_dynamic_stack: false
    .vgpr_count:     7
    .vgpr_spill_count: 0
    .wavefront_size: 32
    .workgroup_processor_mode: 1
  - .args:
      - .address_space:  global
        .offset:         0
        .size:           8
        .value_kind:     global_buffer
      - .address_space:  global
        .offset:         8
        .size:           8
        .value_kind:     global_buffer
      - .offset:         16
        .size:           4
        .value_kind:     by_value
      - .offset:         24
        .size:           8
        .value_kind:     by_value
      - .offset:         32
        .size:           8
        .value_kind:     by_value
      - .offset:         40
        .size:           8
        .value_kind:     by_value
      - .offset:         48
        .size:           4
        .value_kind:     by_value
      - .offset:         56
        .size:           4
        .value_kind:     hidden_block_count_x
      - .offset:         60
        .size:           4
        .value_kind:     hidden_block_count_y
      - .offset:         64
        .size:           4
        .value_kind:     hidden_block_count_z
      - .offset:         68
        .size:           2
        .value_kind:     hidden_group_size_x
      - .offset:         70
        .size:           2
        .value_kind:     hidden_group_size_y
      - .offset:         72
        .size:           2
        .value_kind:     hidden_group_size_z
      - .offset:         74
        .size:           2
        .value_kind:     hidden_remainder_x
      - .offset:         76
        .size:           2
        .value_kind:     hidden_remainder_y
      - .offset:         78
        .size:           2
        .value_kind:     hidden_remainder_z
      - .offset:         96
        .size:           8
        .value_kind:     hidden_global_offset_x
      - .offset:         104
        .size:           8
        .value_kind:     hidden_global_offset_y
      - .offset:         112
        .size:           8
        .value_kind:     hidden_global_offset_z
      - .offset:         120
        .size:           2
        .value_kind:     hidden_grid_dims
      - .offset:         176
        .size:           4
        .value_kind:     hidden_dynamic_lds_size
    .group_segment_fixed_size: 0
    .kernarg_segment_align: 8
    .kernarg_segment_size: 312
    .language:       OpenCL C
    .language_version:
      - 2
      - 0
    .max_flat_workgroup_size: 1024
    .name:           _ZL11l2_norm_f32ILi1024EEvPKfPfilllf
    .private_segment_fixed_size: 0
    .sgpr_count:     42
    .sgpr_spill_count: 0
    .symbol:         _ZL11l2_norm_f32ILi1024EEvPKfPfilllf.kd
    .uniform_work_group_size: 1
    .uses_dynamic_stack: false
    .vgpr_count:     11
    .vgpr_spill_count: 0
    .wavefront_size: 32
    .workgroup_processor_mode: 1
amdhsa.target:   amdgcn-amd-amdhsa--gfx1100
amdhsa.version:
  - 1
  - 2
...

	.end_amdgpu_metadata
